;; amdgpu-corpus repo=ROCm/rccl kind=compiled arch=gfx90a opt=O3
	.text
	.amdgcn_target "amdgcn-amd-amdhsa--gfx90a"
	.amdhsa_code_object_version 6
	.p2align	2                               ; -- Begin function __ockl_fprintf_append_string_n
	.type	__ockl_fprintf_append_string_n,@function
__ockl_fprintf_append_string_n:         ; @__ockl_fprintf_append_string_n
; %bb.0:
	s_waitcnt vmcnt(0) expcnt(0) lgkmcnt(0)
	v_mov_b32_e32 v9, v3
	v_mov_b32_e32 v8, v2
	v_or_b32_e32 v2, 2, v0
	v_cmp_eq_u32_e32 vcc, 0, v6
	s_mov_b32 s22, 0
	v_cndmask_b32_e32 v0, v2, v0, vcc
	s_mov_b64 s[6:7], 0
	v_cmp_ne_u64_e32 vcc, 0, v[8:9]
	v_mbcnt_lo_u32_b32 v2, -1, 0
	s_and_saveexec_b64 s[4:5], vcc
	s_xor_b64 s[10:11], exec, s[4:5]
	s_cbranch_execz .LBB0_86
; %bb.1:
	s_load_dwordx2 s[12:13], s[8:9], 0x50
	v_and_b32_e32 v6, 2, v0
	v_mov_b32_e32 v31, 0
	v_and_b32_e32 v0, -3, v0
	v_mbcnt_hi_u32_b32 v32, -1, v2
	s_movk_i32 s23, 0xff1f
	v_mov_b32_e32 v12, 2
	v_mov_b32_e32 v13, 1
	s_branch .LBB0_3
.LBB0_2:                                ;   in Loop: Header=BB0_3 Depth=1
	s_or_b64 exec, exec, s[16:17]
	v_sub_co_u32_e32 v4, vcc, v4, v34
	v_subb_co_u32_e32 v5, vcc, v5, v35, vcc
	v_cmp_eq_u64_e32 vcc, 0, v[4:5]
	s_or_b64 s[6:7], vcc, s[6:7]
	v_add_co_u32_e32 v8, vcc, v8, v34
	v_addc_co_u32_e32 v9, vcc, v9, v35, vcc
	s_andn2_b64 exec, exec, s[6:7]
	s_cbranch_execz .LBB0_85
.LBB0_3:                                ; =>This Loop Header: Depth=1
                                        ;     Child Loop BB0_6 Depth 2
                                        ;     Child Loop BB0_14 Depth 2
	;; [unrolled: 1-line block ×11, first 2 shown]
	v_cmp_gt_u64_e32 vcc, 56, v[4:5]
	v_cndmask_b32_e32 v35, 0, v5, vcc
	v_cndmask_b32_e32 v34, 56, v4, vcc
	v_cmp_gt_u64_e32 vcc, 8, v[4:5]
                                        ; implicit-def: $vgpr2_vgpr3
                                        ; implicit-def: $sgpr14
	s_and_saveexec_b64 s[4:5], vcc
	s_xor_b64 s[4:5], exec, s[4:5]
	s_cbranch_execz .LBB0_9
; %bb.4:                                ;   in Loop: Header=BB0_3 Depth=1
	s_mov_b64 s[16:17], 0
	v_cmp_ne_u64_e32 vcc, 0, v[4:5]
	s_waitcnt vmcnt(0)
	v_pk_mov_b32 v[2:3], 0, 0
	s_and_saveexec_b64 s[14:15], vcc
	s_cbranch_execz .LBB0_8
; %bb.5:                                ;   in Loop: Header=BB0_3 Depth=1
	v_lshlrev_b64 v[10:11], 3, v[34:35]
	v_pk_mov_b32 v[2:3], 0, 0
	v_pk_mov_b32 v[14:15], v[8:9], v[8:9] op_sel:[0,1]
	s_mov_b64 s[18:19], 0
.LBB0_6:                                ;   Parent Loop BB0_3 Depth=1
                                        ; =>  This Inner Loop Header: Depth=2
	flat_load_ubyte v7, v[14:15]
	v_mov_b32_e32 v17, s22
	v_add_co_u32_e32 v14, vcc, 1, v14
	v_addc_co_u32_e32 v15, vcc, 0, v15, vcc
	s_waitcnt vmcnt(0) lgkmcnt(0)
	v_and_b32_e32 v16, 0xffff, v7
	v_lshlrev_b64 v[16:17], s18, v[16:17]
	s_add_u32 s18, s18, 8
	s_addc_u32 s19, s19, 0
	v_cmp_eq_u32_e32 vcc, s18, v10
	v_or_b32_e32 v3, v17, v3
	s_or_b64 s[16:17], vcc, s[16:17]
	v_or_b32_e32 v2, v16, v2
	s_andn2_b64 exec, exec, s[16:17]
	s_cbranch_execnz .LBB0_6
; %bb.7:                                ;   in Loop: Header=BB0_3 Depth=1
	s_or_b64 exec, exec, s[16:17]
.LBB0_8:                                ;   in Loop: Header=BB0_3 Depth=1
	s_or_b64 exec, exec, s[14:15]
	s_mov_b32 s14, 0
.LBB0_9:                                ;   in Loop: Header=BB0_3 Depth=1
	s_or_saveexec_b64 s[4:5], s[4:5]
	v_mov_b32_e32 v7, s14
	v_pk_mov_b32 v[10:11], v[8:9], v[8:9] op_sel:[0,1]
	s_xor_b64 exec, exec, s[4:5]
	s_cbranch_execz .LBB0_11
; %bb.10:                               ;   in Loop: Header=BB0_3 Depth=1
	s_waitcnt vmcnt(0)
	flat_load_dwordx2 v[2:3], v[8:9]
	v_add_u32_e32 v7, -8, v34
	s_waitcnt vmcnt(0) lgkmcnt(0)
	v_and_b32_e32 v10, 0xff, v3
	v_and_b32_e32 v11, 0xff00, v3
	;; [unrolled: 1-line block ×4, first 2 shown]
	v_or_b32_e32 v10, v10, v11
	v_or3_b32 v3, v10, v14, v3
	v_add_co_u32_e32 v10, vcc, 8, v8
	v_or3_b32 v2, v2, 0, 0
	v_addc_co_u32_e32 v11, vcc, 0, v9, vcc
.LBB0_11:                               ;   in Loop: Header=BB0_3 Depth=1
	s_or_b64 exec, exec, s[4:5]
	v_cmp_gt_u32_e32 vcc, 8, v7
                                        ; implicit-def: $vgpr14_vgpr15
                                        ; implicit-def: $sgpr14
	s_and_saveexec_b64 s[4:5], vcc
	s_xor_b64 s[4:5], exec, s[4:5]
	s_cbranch_execz .LBB0_17
; %bb.12:                               ;   in Loop: Header=BB0_3 Depth=1
	v_cmp_ne_u32_e32 vcc, 0, v7
	v_pk_mov_b32 v[14:15], 0, 0
	s_and_saveexec_b64 s[14:15], vcc
	s_cbranch_execz .LBB0_16
; %bb.13:                               ;   in Loop: Header=BB0_3 Depth=1
	s_mov_b64 s[16:17], 0
	v_pk_mov_b32 v[14:15], 0, 0
	s_mov_b64 s[18:19], 0
	s_mov_b64 s[20:21], 0
.LBB0_14:                               ;   Parent Loop BB0_3 Depth=1
                                        ; =>  This Inner Loop Header: Depth=2
	v_mov_b32_e32 v17, s21
	v_add_co_u32_e32 v16, vcc, s20, v10
	v_addc_co_u32_e32 v17, vcc, v11, v17, vcc
	flat_load_ubyte v16, v[16:17]
	s_add_u32 s20, s20, 1
	v_mov_b32_e32 v17, s22
	s_addc_u32 s21, s21, 0
	v_cmp_eq_u32_e32 vcc, s20, v7
	s_waitcnt vmcnt(0) lgkmcnt(0)
	v_and_b32_e32 v16, 0xffff, v16
	v_lshlrev_b64 v[16:17], s18, v[16:17]
	s_add_u32 s18, s18, 8
	s_addc_u32 s19, s19, 0
	v_or_b32_e32 v15, v17, v15
	s_or_b64 s[16:17], vcc, s[16:17]
	v_or_b32_e32 v14, v16, v14
	s_andn2_b64 exec, exec, s[16:17]
	s_cbranch_execnz .LBB0_14
; %bb.15:                               ;   in Loop: Header=BB0_3 Depth=1
	s_or_b64 exec, exec, s[16:17]
.LBB0_16:                               ;   in Loop: Header=BB0_3 Depth=1
	s_or_b64 exec, exec, s[14:15]
	s_mov_b32 s14, 0
                                        ; implicit-def: $vgpr7
.LBB0_17:                               ;   in Loop: Header=BB0_3 Depth=1
	s_or_saveexec_b64 s[4:5], s[4:5]
	v_mov_b32_e32 v18, s14
	s_xor_b64 exec, exec, s[4:5]
	s_cbranch_execz .LBB0_19
; %bb.18:                               ;   in Loop: Header=BB0_3 Depth=1
	flat_load_dwordx2 v[14:15], v[10:11]
	v_add_u32_e32 v18, -8, v7
	v_add_co_u32_e32 v10, vcc, 8, v10
	v_addc_co_u32_e32 v11, vcc, 0, v11, vcc
	s_waitcnt vmcnt(0) lgkmcnt(0)
	v_and_b32_e32 v7, 0xff, v15
	v_and_b32_e32 v16, 0xff00, v15
	;; [unrolled: 1-line block ×4, first 2 shown]
	v_or_b32_e32 v7, v7, v16
	v_or3_b32 v14, v14, 0, 0
	v_or3_b32 v15, v7, v17, v15
.LBB0_19:                               ;   in Loop: Header=BB0_3 Depth=1
	s_or_b64 exec, exec, s[4:5]
	v_cmp_gt_u32_e32 vcc, 8, v18
                                        ; implicit-def: $sgpr14
	s_and_saveexec_b64 s[4:5], vcc
	s_xor_b64 s[4:5], exec, s[4:5]
	s_cbranch_execz .LBB0_25
; %bb.20:                               ;   in Loop: Header=BB0_3 Depth=1
	v_cmp_ne_u32_e32 vcc, 0, v18
	v_pk_mov_b32 v[16:17], 0, 0
	s_and_saveexec_b64 s[14:15], vcc
	s_cbranch_execz .LBB0_24
; %bb.21:                               ;   in Loop: Header=BB0_3 Depth=1
	s_mov_b64 s[16:17], 0
	v_pk_mov_b32 v[16:17], 0, 0
	s_mov_b64 s[18:19], 0
	s_mov_b64 s[20:21], 0
.LBB0_22:                               ;   Parent Loop BB0_3 Depth=1
                                        ; =>  This Inner Loop Header: Depth=2
	v_mov_b32_e32 v7, s21
	v_add_co_u32_e32 v20, vcc, s20, v10
	v_addc_co_u32_e32 v21, vcc, v11, v7, vcc
	flat_load_ubyte v7, v[20:21]
	s_add_u32 s20, s20, 1
	v_mov_b32_e32 v21, s22
	s_addc_u32 s21, s21, 0
	v_cmp_eq_u32_e32 vcc, s20, v18
	s_waitcnt vmcnt(0) lgkmcnt(0)
	v_and_b32_e32 v20, 0xffff, v7
	v_lshlrev_b64 v[20:21], s18, v[20:21]
	s_add_u32 s18, s18, 8
	s_addc_u32 s19, s19, 0
	v_or_b32_e32 v17, v21, v17
	s_or_b64 s[16:17], vcc, s[16:17]
	v_or_b32_e32 v16, v20, v16
	s_andn2_b64 exec, exec, s[16:17]
	s_cbranch_execnz .LBB0_22
; %bb.23:                               ;   in Loop: Header=BB0_3 Depth=1
	s_or_b64 exec, exec, s[16:17]
.LBB0_24:                               ;   in Loop: Header=BB0_3 Depth=1
	s_or_b64 exec, exec, s[14:15]
	s_mov_b32 s14, 0
                                        ; implicit-def: $vgpr18
.LBB0_25:                               ;   in Loop: Header=BB0_3 Depth=1
	s_or_saveexec_b64 s[4:5], s[4:5]
	v_mov_b32_e32 v7, s14
	s_xor_b64 exec, exec, s[4:5]
	s_cbranch_execz .LBB0_27
; %bb.26:                               ;   in Loop: Header=BB0_3 Depth=1
	flat_load_dwordx2 v[16:17], v[10:11]
	v_add_u32_e32 v7, -8, v18
	v_add_co_u32_e32 v10, vcc, 8, v10
	v_addc_co_u32_e32 v11, vcc, 0, v11, vcc
	s_waitcnt vmcnt(0) lgkmcnt(0)
	v_and_b32_e32 v18, 0xff, v17
	v_and_b32_e32 v19, 0xff00, v17
	;; [unrolled: 1-line block ×4, first 2 shown]
	v_or_b32_e32 v18, v18, v19
	v_or3_b32 v16, v16, 0, 0
	v_or3_b32 v17, v18, v20, v17
.LBB0_27:                               ;   in Loop: Header=BB0_3 Depth=1
	s_or_b64 exec, exec, s[4:5]
	v_cmp_gt_u32_e32 vcc, 8, v7
                                        ; implicit-def: $vgpr18_vgpr19
                                        ; implicit-def: $sgpr14
	s_and_saveexec_b64 s[4:5], vcc
	s_xor_b64 s[4:5], exec, s[4:5]
	s_cbranch_execz .LBB0_33
; %bb.28:                               ;   in Loop: Header=BB0_3 Depth=1
	v_cmp_ne_u32_e32 vcc, 0, v7
	v_pk_mov_b32 v[18:19], 0, 0
	s_and_saveexec_b64 s[14:15], vcc
	s_cbranch_execz .LBB0_32
; %bb.29:                               ;   in Loop: Header=BB0_3 Depth=1
	s_mov_b64 s[16:17], 0
	v_pk_mov_b32 v[18:19], 0, 0
	s_mov_b64 s[18:19], 0
	s_mov_b64 s[20:21], 0
.LBB0_30:                               ;   Parent Loop BB0_3 Depth=1
                                        ; =>  This Inner Loop Header: Depth=2
	v_mov_b32_e32 v21, s21
	v_add_co_u32_e32 v20, vcc, s20, v10
	v_addc_co_u32_e32 v21, vcc, v11, v21, vcc
	flat_load_ubyte v20, v[20:21]
	s_add_u32 s20, s20, 1
	v_mov_b32_e32 v21, s22
	s_addc_u32 s21, s21, 0
	v_cmp_eq_u32_e32 vcc, s20, v7
	s_waitcnt vmcnt(0) lgkmcnt(0)
	v_and_b32_e32 v20, 0xffff, v20
	v_lshlrev_b64 v[20:21], s18, v[20:21]
	s_add_u32 s18, s18, 8
	s_addc_u32 s19, s19, 0
	v_or_b32_e32 v19, v21, v19
	s_or_b64 s[16:17], vcc, s[16:17]
	v_or_b32_e32 v18, v20, v18
	s_andn2_b64 exec, exec, s[16:17]
	s_cbranch_execnz .LBB0_30
; %bb.31:                               ;   in Loop: Header=BB0_3 Depth=1
	s_or_b64 exec, exec, s[16:17]
.LBB0_32:                               ;   in Loop: Header=BB0_3 Depth=1
	s_or_b64 exec, exec, s[14:15]
	s_mov_b32 s14, 0
                                        ; implicit-def: $vgpr7
.LBB0_33:                               ;   in Loop: Header=BB0_3 Depth=1
	s_or_saveexec_b64 s[4:5], s[4:5]
	v_mov_b32_e32 v22, s14
	s_xor_b64 exec, exec, s[4:5]
	s_cbranch_execz .LBB0_35
; %bb.34:                               ;   in Loop: Header=BB0_3 Depth=1
	flat_load_dwordx2 v[18:19], v[10:11]
	v_add_u32_e32 v22, -8, v7
	v_add_co_u32_e32 v10, vcc, 8, v10
	v_addc_co_u32_e32 v11, vcc, 0, v11, vcc
	s_waitcnt vmcnt(0) lgkmcnt(0)
	v_and_b32_e32 v7, 0xff, v19
	v_and_b32_e32 v20, 0xff00, v19
	;; [unrolled: 1-line block ×4, first 2 shown]
	v_or_b32_e32 v7, v7, v20
	v_or3_b32 v18, v18, 0, 0
	v_or3_b32 v19, v7, v21, v19
.LBB0_35:                               ;   in Loop: Header=BB0_3 Depth=1
	s_or_b64 exec, exec, s[4:5]
	v_cmp_gt_u32_e32 vcc, 8, v22
                                        ; implicit-def: $sgpr14
	s_and_saveexec_b64 s[4:5], vcc
	s_xor_b64 s[4:5], exec, s[4:5]
	s_cbranch_execz .LBB0_41
; %bb.36:                               ;   in Loop: Header=BB0_3 Depth=1
	v_cmp_ne_u32_e32 vcc, 0, v22
	v_pk_mov_b32 v[20:21], 0, 0
	s_and_saveexec_b64 s[14:15], vcc
	s_cbranch_execz .LBB0_40
; %bb.37:                               ;   in Loop: Header=BB0_3 Depth=1
	s_mov_b64 s[16:17], 0
	v_pk_mov_b32 v[20:21], 0, 0
	s_mov_b64 s[18:19], 0
	s_mov_b64 s[20:21], 0
.LBB0_38:                               ;   Parent Loop BB0_3 Depth=1
                                        ; =>  This Inner Loop Header: Depth=2
	v_mov_b32_e32 v7, s21
	v_add_co_u32_e32 v24, vcc, s20, v10
	v_addc_co_u32_e32 v25, vcc, v11, v7, vcc
	flat_load_ubyte v7, v[24:25]
	s_add_u32 s20, s20, 1
	v_mov_b32_e32 v25, s22
	s_addc_u32 s21, s21, 0
	v_cmp_eq_u32_e32 vcc, s20, v22
	s_waitcnt vmcnt(0) lgkmcnt(0)
	v_and_b32_e32 v24, 0xffff, v7
	v_lshlrev_b64 v[24:25], s18, v[24:25]
	s_add_u32 s18, s18, 8
	s_addc_u32 s19, s19, 0
	v_or_b32_e32 v21, v25, v21
	s_or_b64 s[16:17], vcc, s[16:17]
	v_or_b32_e32 v20, v24, v20
	s_andn2_b64 exec, exec, s[16:17]
	s_cbranch_execnz .LBB0_38
; %bb.39:                               ;   in Loop: Header=BB0_3 Depth=1
	s_or_b64 exec, exec, s[16:17]
.LBB0_40:                               ;   in Loop: Header=BB0_3 Depth=1
	s_or_b64 exec, exec, s[14:15]
	s_mov_b32 s14, 0
                                        ; implicit-def: $vgpr22
.LBB0_41:                               ;   in Loop: Header=BB0_3 Depth=1
	s_or_saveexec_b64 s[4:5], s[4:5]
	v_mov_b32_e32 v7, s14
	s_xor_b64 exec, exec, s[4:5]
	s_cbranch_execz .LBB0_43
; %bb.42:                               ;   in Loop: Header=BB0_3 Depth=1
	flat_load_dwordx2 v[20:21], v[10:11]
	v_add_u32_e32 v7, -8, v22
	v_add_co_u32_e32 v10, vcc, 8, v10
	v_addc_co_u32_e32 v11, vcc, 0, v11, vcc
	s_waitcnt vmcnt(0) lgkmcnt(0)
	v_and_b32_e32 v22, 0xff, v21
	v_and_b32_e32 v23, 0xff00, v21
	;; [unrolled: 1-line block ×4, first 2 shown]
	v_or_b32_e32 v22, v22, v23
	v_or3_b32 v20, v20, 0, 0
	v_or3_b32 v21, v22, v24, v21
.LBB0_43:                               ;   in Loop: Header=BB0_3 Depth=1
	s_or_b64 exec, exec, s[4:5]
	v_cmp_gt_u32_e32 vcc, 8, v7
                                        ; implicit-def: $vgpr22_vgpr23
                                        ; implicit-def: $sgpr14
	s_and_saveexec_b64 s[4:5], vcc
	s_xor_b64 s[4:5], exec, s[4:5]
	s_cbranch_execz .LBB0_49
; %bb.44:                               ;   in Loop: Header=BB0_3 Depth=1
	v_cmp_ne_u32_e32 vcc, 0, v7
	v_pk_mov_b32 v[22:23], 0, 0
	s_and_saveexec_b64 s[14:15], vcc
	s_cbranch_execz .LBB0_48
; %bb.45:                               ;   in Loop: Header=BB0_3 Depth=1
	s_mov_b64 s[16:17], 0
	v_pk_mov_b32 v[22:23], 0, 0
	s_mov_b64 s[18:19], 0
	s_mov_b64 s[20:21], 0
.LBB0_46:                               ;   Parent Loop BB0_3 Depth=1
                                        ; =>  This Inner Loop Header: Depth=2
	v_mov_b32_e32 v25, s21
	v_add_co_u32_e32 v24, vcc, s20, v10
	v_addc_co_u32_e32 v25, vcc, v11, v25, vcc
	flat_load_ubyte v24, v[24:25]
	s_add_u32 s20, s20, 1
	v_mov_b32_e32 v25, s22
	s_addc_u32 s21, s21, 0
	v_cmp_eq_u32_e32 vcc, s20, v7
	s_waitcnt vmcnt(0) lgkmcnt(0)
	v_and_b32_e32 v24, 0xffff, v24
	v_lshlrev_b64 v[24:25], s18, v[24:25]
	s_add_u32 s18, s18, 8
	s_addc_u32 s19, s19, 0
	v_or_b32_e32 v23, v25, v23
	s_or_b64 s[16:17], vcc, s[16:17]
	v_or_b32_e32 v22, v24, v22
	s_andn2_b64 exec, exec, s[16:17]
	s_cbranch_execnz .LBB0_46
; %bb.47:                               ;   in Loop: Header=BB0_3 Depth=1
	s_or_b64 exec, exec, s[16:17]
.LBB0_48:                               ;   in Loop: Header=BB0_3 Depth=1
	s_or_b64 exec, exec, s[14:15]
	s_mov_b32 s14, 0
                                        ; implicit-def: $vgpr7
.LBB0_49:                               ;   in Loop: Header=BB0_3 Depth=1
	s_or_saveexec_b64 s[4:5], s[4:5]
	v_mov_b32_e32 v26, s14
	s_xor_b64 exec, exec, s[4:5]
	s_cbranch_execz .LBB0_51
; %bb.50:                               ;   in Loop: Header=BB0_3 Depth=1
	flat_load_dwordx2 v[22:23], v[10:11]
	v_add_u32_e32 v26, -8, v7
	v_add_co_u32_e32 v10, vcc, 8, v10
	v_addc_co_u32_e32 v11, vcc, 0, v11, vcc
	s_waitcnt vmcnt(0) lgkmcnt(0)
	v_and_b32_e32 v7, 0xff, v23
	v_and_b32_e32 v24, 0xff00, v23
	v_and_b32_e32 v25, 0xff0000, v23
	v_and_b32_e32 v23, 0xff000000, v23
	v_or_b32_e32 v7, v7, v24
	v_or3_b32 v22, v22, 0, 0
	v_or3_b32 v23, v7, v25, v23
.LBB0_51:                               ;   in Loop: Header=BB0_3 Depth=1
	s_or_b64 exec, exec, s[4:5]
	v_cmp_gt_u32_e32 vcc, 8, v26
	s_and_saveexec_b64 s[4:5], vcc
	s_xor_b64 s[4:5], exec, s[4:5]
	s_cbranch_execz .LBB0_57
; %bb.52:                               ;   in Loop: Header=BB0_3 Depth=1
	v_cmp_ne_u32_e32 vcc, 0, v26
	v_pk_mov_b32 v[24:25], 0, 0
	s_and_saveexec_b64 s[14:15], vcc
	s_cbranch_execz .LBB0_56
; %bb.53:                               ;   in Loop: Header=BB0_3 Depth=1
	s_mov_b64 s[16:17], 0
	v_pk_mov_b32 v[24:25], 0, 0
	s_mov_b64 s[18:19], 0
.LBB0_54:                               ;   Parent Loop BB0_3 Depth=1
                                        ; =>  This Inner Loop Header: Depth=2
	flat_load_ubyte v7, v[10:11]
	v_mov_b32_e32 v29, s22
	v_add_co_u32_e32 v10, vcc, 1, v10
	v_add_u32_e32 v26, -1, v26
	v_addc_co_u32_e32 v11, vcc, 0, v11, vcc
	v_cmp_eq_u32_e32 vcc, 0, v26
	s_waitcnt vmcnt(0) lgkmcnt(0)
	v_and_b32_e32 v28, 0xffff, v7
	v_lshlrev_b64 v[28:29], s18, v[28:29]
	s_add_u32 s18, s18, 8
	s_addc_u32 s19, s19, 0
	v_or_b32_e32 v25, v29, v25
	s_or_b64 s[16:17], vcc, s[16:17]
	v_or_b32_e32 v24, v28, v24
	s_andn2_b64 exec, exec, s[16:17]
	s_cbranch_execnz .LBB0_54
; %bb.55:                               ;   in Loop: Header=BB0_3 Depth=1
	s_or_b64 exec, exec, s[16:17]
.LBB0_56:                               ;   in Loop: Header=BB0_3 Depth=1
	s_or_b64 exec, exec, s[14:15]
                                        ; implicit-def: $vgpr10_vgpr11
.LBB0_57:                               ;   in Loop: Header=BB0_3 Depth=1
	s_andn2_saveexec_b64 s[4:5], s[4:5]
	s_cbranch_execz .LBB0_59
; %bb.58:                               ;   in Loop: Header=BB0_3 Depth=1
	flat_load_dwordx2 v[10:11], v[10:11]
	s_waitcnt vmcnt(0) lgkmcnt(0)
	v_and_b32_e32 v7, 0xff, v11
	v_and_b32_e32 v24, 0xff00, v11
	;; [unrolled: 1-line block ×4, first 2 shown]
	v_or_b32_e32 v7, v7, v24
	v_or3_b32 v25, v7, v25, v11
	v_or3_b32 v24, v10, 0, 0
.LBB0_59:                               ;   in Loop: Header=BB0_3 Depth=1
	s_or_b64 exec, exec, s[4:5]
	v_readfirstlane_b32 s4, v32
	v_cmp_eq_u32_e64 s[4:5], s4, v32
	v_pk_mov_b32 v[10:11], 0, 0
	s_and_saveexec_b64 s[14:15], s[4:5]
	s_cbranch_execz .LBB0_65
; %bb.60:                               ;   in Loop: Header=BB0_3 Depth=1
	s_waitcnt lgkmcnt(0)
	global_load_dwordx2 v[28:29], v31, s[12:13] offset:24 glc
	s_waitcnt vmcnt(0)
	buffer_invl2
	buffer_wbinvl1_vol
	global_load_dwordx2 v[10:11], v31, s[12:13] offset:40
	global_load_dwordx2 v[26:27], v31, s[12:13]
	s_waitcnt vmcnt(1)
	v_and_b32_e32 v7, v10, v28
	v_and_b32_e32 v10, v11, v29
	v_mul_lo_u32 v10, v10, 24
	v_mul_hi_u32 v11, v7, 24
	v_mul_lo_u32 v7, v7, 24
	v_add_u32_e32 v11, v11, v10
	s_waitcnt vmcnt(0)
	v_add_co_u32_e32 v10, vcc, v26, v7
	v_addc_co_u32_e32 v11, vcc, v27, v11, vcc
	global_load_dwordx2 v[26:27], v[10:11], off glc
	s_waitcnt vmcnt(0)
	global_atomic_cmpswap_x2 v[10:11], v31, v[26:29], s[12:13] offset:24 glc
	s_waitcnt vmcnt(0)
	buffer_invl2
	buffer_wbinvl1_vol
	v_cmp_ne_u64_e32 vcc, v[10:11], v[28:29]
	s_and_saveexec_b64 s[16:17], vcc
	s_cbranch_execz .LBB0_64
; %bb.61:                               ;   in Loop: Header=BB0_3 Depth=1
	s_mov_b64 s[18:19], 0
.LBB0_62:                               ;   Parent Loop BB0_3 Depth=1
                                        ; =>  This Inner Loop Header: Depth=2
	s_sleep 1
	global_load_dwordx2 v[26:27], v31, s[12:13] offset:40
	global_load_dwordx2 v[36:37], v31, s[12:13]
	v_pk_mov_b32 v[28:29], v[10:11], v[10:11] op_sel:[0,1]
	s_waitcnt vmcnt(1)
	v_and_b32_e32 v10, v26, v28
	s_waitcnt vmcnt(0)
	v_mad_u64_u32 v[10:11], s[20:21], v10, 24, v[36:37]
	v_and_b32_e32 v7, v27, v29
	v_mov_b32_e32 v26, v11
	v_mad_u64_u32 v[26:27], s[20:21], v7, 24, v[26:27]
	v_mov_b32_e32 v11, v26
	global_load_dwordx2 v[26:27], v[10:11], off glc
	s_waitcnt vmcnt(0)
	global_atomic_cmpswap_x2 v[10:11], v31, v[26:29], s[12:13] offset:24 glc
	s_waitcnt vmcnt(0)
	buffer_invl2
	buffer_wbinvl1_vol
	v_cmp_eq_u64_e32 vcc, v[10:11], v[28:29]
	s_or_b64 s[18:19], vcc, s[18:19]
	s_andn2_b64 exec, exec, s[18:19]
	s_cbranch_execnz .LBB0_62
; %bb.63:                               ;   in Loop: Header=BB0_3 Depth=1
	s_or_b64 exec, exec, s[18:19]
.LBB0_64:                               ;   in Loop: Header=BB0_3 Depth=1
	s_or_b64 exec, exec, s[16:17]
.LBB0_65:                               ;   in Loop: Header=BB0_3 Depth=1
	s_or_b64 exec, exec, s[14:15]
	s_waitcnt lgkmcnt(0)
	global_load_dwordx2 v[36:37], v31, s[12:13] offset:40
	global_load_dwordx4 v[26:29], v31, s[12:13]
	v_readfirstlane_b32 s14, v10
	v_readfirstlane_b32 s15, v11
	s_mov_b64 s[16:17], exec
	s_waitcnt vmcnt(1)
	v_readfirstlane_b32 s18, v36
	v_readfirstlane_b32 s19, v37
	s_and_b64 s[18:19], s[14:15], s[18:19]
	s_mul_i32 s20, s19, 24
	s_mul_hi_u32 s21, s18, 24
	s_mul_i32 s24, s18, 24
	s_add_i32 s20, s21, s20
	v_mov_b32_e32 v7, s20
	s_waitcnt vmcnt(0)
	v_add_co_u32_e32 v36, vcc, s24, v26
	v_addc_co_u32_e32 v37, vcc, v27, v7, vcc
	s_and_saveexec_b64 s[20:21], s[4:5]
	s_cbranch_execz .LBB0_67
; %bb.66:                               ;   in Loop: Header=BB0_3 Depth=1
	v_pk_mov_b32 v[10:11], s[16:17], s[16:17] op_sel:[0,1]
	global_store_dwordx4 v[36:37], v[10:13], off offset:8
.LBB0_67:                               ;   in Loop: Header=BB0_3 Depth=1
	s_or_b64 exec, exec, s[20:21]
	s_lshl_b64 s[16:17], s[18:19], 12
	v_mov_b32_e32 v7, s17
	v_add_co_u32_e32 v10, vcc, s16, v28
	v_addc_co_u32_e32 v7, vcc, v29, v7, vcc
	v_or_b32_e32 v11, 0, v1
	v_cmp_lt_u64_e32 vcc, 56, v[4:5]
	v_or_b32_e32 v28, v0, v6
	v_cndmask_b32_e32 v1, v11, v1, vcc
	v_lshl_add_u32 v11, v34, 2, 28
	v_cndmask_b32_e32 v0, v28, v0, vcc
	v_and_b32_e32 v11, 0x1e0, v11
	v_and_or_b32 v0, v0, s23, v11
	v_lshlrev_b32_e32 v11, 6, v32
	v_readfirstlane_b32 s16, v10
	v_readfirstlane_b32 s17, v7
	s_nop 4
	global_store_dwordx4 v11, v[0:3], s[16:17]
	global_store_dwordx4 v11, v[14:17], s[16:17] offset:16
	global_store_dwordx4 v11, v[18:21], s[16:17] offset:32
	;; [unrolled: 1-line block ×3, first 2 shown]
	s_and_saveexec_b64 s[16:17], s[4:5]
	s_cbranch_execz .LBB0_75
; %bb.68:                               ;   in Loop: Header=BB0_3 Depth=1
	global_load_dwordx2 v[18:19], v31, s[12:13] offset:32 glc
	global_load_dwordx2 v[0:1], v31, s[12:13] offset:40
	v_mov_b32_e32 v16, s14
	v_mov_b32_e32 v17, s15
	s_waitcnt vmcnt(0)
	v_readfirstlane_b32 s18, v0
	v_readfirstlane_b32 s19, v1
	s_and_b64 s[18:19], s[18:19], s[14:15]
	s_mul_i32 s19, s19, 24
	s_mul_hi_u32 s20, s18, 24
	s_mul_i32 s18, s18, 24
	s_add_i32 s19, s20, s19
	v_mov_b32_e32 v0, s19
	v_add_co_u32_e32 v14, vcc, s18, v26
	v_addc_co_u32_e32 v15, vcc, v27, v0, vcc
	global_store_dwordx2 v[14:15], v[18:19], off
	buffer_wbl2
	s_waitcnt vmcnt(0)
	global_atomic_cmpswap_x2 v[2:3], v31, v[16:19], s[12:13] offset:32 glc
	s_waitcnt vmcnt(0)
	v_cmp_ne_u64_e32 vcc, v[2:3], v[18:19]
	s_and_saveexec_b64 s[18:19], vcc
	s_cbranch_execz .LBB0_71
; %bb.69:                               ;   in Loop: Header=BB0_3 Depth=1
	s_mov_b64 s[20:21], 0
.LBB0_70:                               ;   Parent Loop BB0_3 Depth=1
                                        ; =>  This Inner Loop Header: Depth=2
	s_sleep 1
	global_store_dwordx2 v[14:15], v[2:3], off
	v_mov_b32_e32 v0, s14
	v_mov_b32_e32 v1, s15
	buffer_wbl2
	s_waitcnt vmcnt(0)
	global_atomic_cmpswap_x2 v[0:1], v31, v[0:3], s[12:13] offset:32 glc
	s_waitcnt vmcnt(0)
	v_cmp_eq_u64_e32 vcc, v[0:1], v[2:3]
	s_or_b64 s[20:21], vcc, s[20:21]
	v_pk_mov_b32 v[2:3], v[0:1], v[0:1] op_sel:[0,1]
	s_andn2_b64 exec, exec, s[20:21]
	s_cbranch_execnz .LBB0_70
.LBB0_71:                               ;   in Loop: Header=BB0_3 Depth=1
	s_or_b64 exec, exec, s[18:19]
	global_load_dwordx2 v[0:1], v31, s[12:13] offset:16
	s_mov_b64 s[20:21], exec
	v_mbcnt_lo_u32_b32 v2, s20, 0
	v_mbcnt_hi_u32_b32 v2, s21, v2
	v_cmp_eq_u32_e32 vcc, 0, v2
	s_and_saveexec_b64 s[18:19], vcc
	s_cbranch_execz .LBB0_73
; %bb.72:                               ;   in Loop: Header=BB0_3 Depth=1
	s_bcnt1_i32_b64 s20, s[20:21]
	v_mov_b32_e32 v30, s20
	buffer_wbl2
	s_waitcnt vmcnt(0)
	global_atomic_add_x2 v[0:1], v[30:31], off offset:8
.LBB0_73:                               ;   in Loop: Header=BB0_3 Depth=1
	s_or_b64 exec, exec, s[18:19]
	s_waitcnt vmcnt(0)
	global_load_dwordx2 v[2:3], v[0:1], off offset:16
	s_waitcnt vmcnt(0)
	v_cmp_eq_u64_e32 vcc, 0, v[2:3]
	s_cbranch_vccnz .LBB0_75
; %bb.74:                               ;   in Loop: Header=BB0_3 Depth=1
	global_load_dword v30, v[0:1], off offset:24
	s_waitcnt vmcnt(0)
	v_and_b32_e32 v0, 0xffffff, v30
	v_readfirstlane_b32 m0, v0
	buffer_wbl2
	global_store_dwordx2 v[2:3], v[30:31], off
	s_sendmsg sendmsg(MSG_INTERRUPT)
.LBB0_75:                               ;   in Loop: Header=BB0_3 Depth=1
	s_or_b64 exec, exec, s[16:17]
	v_add_co_u32_e32 v0, vcc, v10, v11
	v_addc_co_u32_e32 v1, vcc, 0, v7, vcc
	s_branch .LBB0_79
.LBB0_76:                               ;   in Loop: Header=BB0_79 Depth=2
	s_or_b64 exec, exec, s[16:17]
	v_readfirstlane_b32 s16, v2
	s_cmp_eq_u32 s16, 0
	s_cbranch_scc1 .LBB0_78
; %bb.77:                               ;   in Loop: Header=BB0_79 Depth=2
	s_sleep 1
	s_cbranch_execnz .LBB0_79
	s_branch .LBB0_81
.LBB0_78:                               ;   in Loop: Header=BB0_3 Depth=1
	s_branch .LBB0_81
.LBB0_79:                               ;   Parent Loop BB0_3 Depth=1
                                        ; =>  This Inner Loop Header: Depth=2
	v_mov_b32_e32 v2, 1
	s_and_saveexec_b64 s[16:17], s[4:5]
	s_cbranch_execz .LBB0_76
; %bb.80:                               ;   in Loop: Header=BB0_79 Depth=2
	global_load_dword v2, v[36:37], off offset:20 glc
	s_waitcnt vmcnt(0)
	buffer_invl2
	buffer_wbinvl1_vol
	v_and_b32_e32 v2, 1, v2
	s_branch .LBB0_76
.LBB0_81:                               ;   in Loop: Header=BB0_3 Depth=1
	global_load_dwordx4 v[0:3], v[0:1], off
	s_and_saveexec_b64 s[16:17], s[4:5]
	s_cbranch_execz .LBB0_2
; %bb.82:                               ;   in Loop: Header=BB0_3 Depth=1
	global_load_dwordx2 v[2:3], v31, s[12:13] offset:40
	global_load_dwordx2 v[10:11], v31, s[12:13] offset:24 glc
	global_load_dwordx2 v[18:19], v31, s[12:13]
	v_mov_b32_e32 v7, s15
	s_waitcnt vmcnt(2)
	v_add_co_u32_e32 v17, vcc, 1, v2
	v_addc_co_u32_e32 v20, vcc, 0, v3, vcc
	v_add_co_u32_e32 v14, vcc, s14, v17
	v_addc_co_u32_e32 v15, vcc, v20, v7, vcc
	v_cmp_eq_u64_e32 vcc, 0, v[14:15]
	v_cndmask_b32_e32 v15, v15, v20, vcc
	v_cndmask_b32_e32 v14, v14, v17, vcc
	v_and_b32_e32 v3, v15, v3
	v_and_b32_e32 v2, v14, v2
	v_mul_lo_u32 v3, v3, 24
	v_mul_hi_u32 v7, v2, 24
	v_mul_lo_u32 v2, v2, 24
	v_add_u32_e32 v3, v7, v3
	s_waitcnt vmcnt(0)
	v_add_co_u32_e32 v2, vcc, v18, v2
	v_addc_co_u32_e32 v3, vcc, v19, v3, vcc
	v_mov_b32_e32 v16, v10
	global_store_dwordx2 v[2:3], v[10:11], off
	v_mov_b32_e32 v17, v11
	buffer_wbl2
	s_waitcnt vmcnt(0)
	global_atomic_cmpswap_x2 v[16:17], v31, v[14:17], s[12:13] offset:24 glc
	s_waitcnt vmcnt(0)
	v_cmp_ne_u64_e32 vcc, v[16:17], v[10:11]
	s_and_b64 exec, exec, vcc
	s_cbranch_execz .LBB0_2
; %bb.83:                               ;   in Loop: Header=BB0_3 Depth=1
	s_mov_b64 s[4:5], 0
.LBB0_84:                               ;   Parent Loop BB0_3 Depth=1
                                        ; =>  This Inner Loop Header: Depth=2
	s_sleep 1
	global_store_dwordx2 v[2:3], v[16:17], off
	buffer_wbl2
	s_waitcnt vmcnt(0)
	global_atomic_cmpswap_x2 v[10:11], v31, v[14:17], s[12:13] offset:24 glc
	s_waitcnt vmcnt(0)
	v_cmp_eq_u64_e32 vcc, v[10:11], v[16:17]
	s_or_b64 s[4:5], vcc, s[4:5]
	v_pk_mov_b32 v[16:17], v[10:11], v[10:11] op_sel:[0,1]
	s_andn2_b64 exec, exec, s[4:5]
	s_cbranch_execnz .LBB0_84
	s_branch .LBB0_2
.LBB0_85:
	s_or_b64 exec, exec, s[6:7]
                                        ; implicit-def: $vgpr0
                                        ; implicit-def: $vgpr1
                                        ; implicit-def: $vgpr2
.LBB0_86:
	s_andn2_saveexec_b64 s[6:7], s[10:11]
	s_cbranch_execz .LBB0_109
; %bb.87:
	s_load_dwordx2 s[8:9], s[8:9], 0x50
	s_waitcnt vmcnt(0)
	v_mbcnt_hi_u32_b32 v3, -1, v2
	v_readfirstlane_b32 s4, v3
	v_cmp_eq_u32_e64 s[4:5], s4, v3
	v_pk_mov_b32 v[8:9], 0, 0
	s_and_saveexec_b64 s[10:11], s[4:5]
	s_cbranch_execz .LBB0_93
; %bb.88:
	v_mov_b32_e32 v2, 0
	s_waitcnt lgkmcnt(0)
	global_load_dwordx2 v[6:7], v2, s[8:9] offset:24 glc
	s_waitcnt vmcnt(0)
	buffer_invl2
	buffer_wbinvl1_vol
	global_load_dwordx2 v[4:5], v2, s[8:9] offset:40
	global_load_dwordx2 v[8:9], v2, s[8:9]
	s_waitcnt vmcnt(1)
	v_and_b32_e32 v4, v4, v6
	v_and_b32_e32 v5, v5, v7
	v_mul_lo_u32 v5, v5, 24
	v_mul_hi_u32 v10, v4, 24
	v_mul_lo_u32 v4, v4, 24
	v_add_u32_e32 v5, v10, v5
	s_waitcnt vmcnt(0)
	v_add_co_u32_e32 v4, vcc, v8, v4
	v_addc_co_u32_e32 v5, vcc, v9, v5, vcc
	global_load_dwordx2 v[4:5], v[4:5], off glc
	s_waitcnt vmcnt(0)
	global_atomic_cmpswap_x2 v[8:9], v2, v[4:7], s[8:9] offset:24 glc
	s_waitcnt vmcnt(0)
	buffer_invl2
	buffer_wbinvl1_vol
	v_cmp_ne_u64_e32 vcc, v[8:9], v[6:7]
	s_and_saveexec_b64 s[12:13], vcc
	s_cbranch_execz .LBB0_92
; %bb.89:
	s_mov_b64 s[14:15], 0
.LBB0_90:                               ; =>This Inner Loop Header: Depth=1
	s_sleep 1
	global_load_dwordx2 v[4:5], v2, s[8:9] offset:40
	global_load_dwordx2 v[10:11], v2, s[8:9]
	v_pk_mov_b32 v[6:7], v[8:9], v[8:9] op_sel:[0,1]
	s_waitcnt vmcnt(1)
	v_and_b32_e32 v4, v4, v6
	v_and_b32_e32 v9, v5, v7
	s_waitcnt vmcnt(0)
	v_mad_u64_u32 v[4:5], s[16:17], v4, 24, v[10:11]
	v_mov_b32_e32 v8, v5
	v_mad_u64_u32 v[8:9], s[16:17], v9, 24, v[8:9]
	v_mov_b32_e32 v5, v8
	global_load_dwordx2 v[4:5], v[4:5], off glc
	s_waitcnt vmcnt(0)
	global_atomic_cmpswap_x2 v[8:9], v2, v[4:7], s[8:9] offset:24 glc
	s_waitcnt vmcnt(0)
	buffer_invl2
	buffer_wbinvl1_vol
	v_cmp_eq_u64_e32 vcc, v[8:9], v[6:7]
	s_or_b64 s[14:15], vcc, s[14:15]
	s_andn2_b64 exec, exec, s[14:15]
	s_cbranch_execnz .LBB0_90
; %bb.91:
	s_or_b64 exec, exec, s[14:15]
.LBB0_92:
	s_or_b64 exec, exec, s[12:13]
.LBB0_93:
	s_or_b64 exec, exec, s[10:11]
	v_mov_b32_e32 v2, 0
	s_waitcnt lgkmcnt(0)
	global_load_dwordx2 v[10:11], v2, s[8:9] offset:40
	global_load_dwordx4 v[4:7], v2, s[8:9]
	v_readfirstlane_b32 s10, v8
	v_readfirstlane_b32 s11, v9
	s_mov_b64 s[12:13], exec
	s_waitcnt vmcnt(1)
	v_readfirstlane_b32 s14, v10
	v_readfirstlane_b32 s15, v11
	s_and_b64 s[14:15], s[10:11], s[14:15]
	s_mul_i32 s16, s15, 24
	s_mul_hi_u32 s17, s14, 24
	s_mul_i32 s18, s14, 24
	s_add_i32 s16, s17, s16
	v_mov_b32_e32 v9, s16
	s_waitcnt vmcnt(0)
	v_add_co_u32_e32 v8, vcc, s18, v4
	v_addc_co_u32_e32 v9, vcc, v5, v9, vcc
	s_and_saveexec_b64 s[16:17], s[4:5]
	s_cbranch_execz .LBB0_95
; %bb.94:
	v_pk_mov_b32 v[10:11], s[12:13], s[12:13] op_sel:[0,1]
	v_mov_b32_e32 v12, 2
	v_mov_b32_e32 v13, 1
	global_store_dwordx4 v[8:9], v[10:13], off offset:8
.LBB0_95:
	s_or_b64 exec, exec, s[16:17]
	s_lshl_b64 s[12:13], s[14:15], 12
	v_mov_b32_e32 v10, s13
	v_add_co_u32_e32 v6, vcc, s12, v6
	s_movk_i32 s12, 0xff1f
	v_addc_co_u32_e32 v7, vcc, v7, v10, vcc
	v_and_or_b32 v0, v0, s12, 32
	s_mov_b32 s12, 0
	v_lshlrev_b32_e32 v10, 6, v3
	v_mov_b32_e32 v3, v2
	v_readfirstlane_b32 s16, v6
	v_readfirstlane_b32 s17, v7
	s_mov_b32 s13, s12
	s_mov_b32 s14, s12
	;; [unrolled: 1-line block ×3, first 2 shown]
	s_nop 1
	global_store_dwordx4 v10, v[0:3], s[16:17]
	s_nop 0
	v_pk_mov_b32 v[0:1], s[12:13], s[12:13] op_sel:[0,1]
	v_pk_mov_b32 v[2:3], s[14:15], s[14:15] op_sel:[0,1]
	global_store_dwordx4 v10, v[0:3], s[16:17] offset:16
	global_store_dwordx4 v10, v[0:3], s[16:17] offset:32
	;; [unrolled: 1-line block ×3, first 2 shown]
	s_and_saveexec_b64 s[12:13], s[4:5]
	s_cbranch_execz .LBB0_103
; %bb.96:
	v_mov_b32_e32 v6, 0
	global_load_dwordx2 v[12:13], v6, s[8:9] offset:32 glc
	global_load_dwordx2 v[0:1], v6, s[8:9] offset:40
	v_mov_b32_e32 v10, s10
	v_mov_b32_e32 v11, s11
	s_waitcnt vmcnt(0)
	v_and_b32_e32 v0, s10, v0
	v_and_b32_e32 v1, s11, v1
	v_mul_lo_u32 v1, v1, 24
	v_mul_hi_u32 v2, v0, 24
	v_mul_lo_u32 v0, v0, 24
	v_add_u32_e32 v1, v2, v1
	v_add_co_u32_e32 v4, vcc, v4, v0
	v_addc_co_u32_e32 v5, vcc, v5, v1, vcc
	global_store_dwordx2 v[4:5], v[12:13], off
	buffer_wbl2
	s_waitcnt vmcnt(0)
	global_atomic_cmpswap_x2 v[2:3], v6, v[10:13], s[8:9] offset:32 glc
	s_waitcnt vmcnt(0)
	v_cmp_ne_u64_e32 vcc, v[2:3], v[12:13]
	s_and_saveexec_b64 s[14:15], vcc
	s_cbranch_execz .LBB0_99
; %bb.97:
	s_mov_b64 s[16:17], 0
.LBB0_98:                               ; =>This Inner Loop Header: Depth=1
	s_sleep 1
	global_store_dwordx2 v[4:5], v[2:3], off
	v_mov_b32_e32 v0, s10
	v_mov_b32_e32 v1, s11
	buffer_wbl2
	s_waitcnt vmcnt(0)
	global_atomic_cmpswap_x2 v[0:1], v6, v[0:3], s[8:9] offset:32 glc
	s_waitcnt vmcnt(0)
	v_cmp_eq_u64_e32 vcc, v[0:1], v[2:3]
	s_or_b64 s[16:17], vcc, s[16:17]
	v_pk_mov_b32 v[2:3], v[0:1], v[0:1] op_sel:[0,1]
	s_andn2_b64 exec, exec, s[16:17]
	s_cbranch_execnz .LBB0_98
.LBB0_99:
	s_or_b64 exec, exec, s[14:15]
	v_mov_b32_e32 v3, 0
	global_load_dwordx2 v[0:1], v3, s[8:9] offset:16
	s_mov_b64 s[14:15], exec
	v_mbcnt_lo_u32_b32 v2, s14, 0
	v_mbcnt_hi_u32_b32 v2, s15, v2
	v_cmp_eq_u32_e32 vcc, 0, v2
	s_and_saveexec_b64 s[16:17], vcc
	s_cbranch_execz .LBB0_101
; %bb.100:
	s_bcnt1_i32_b64 s14, s[14:15]
	v_mov_b32_e32 v2, s14
	buffer_wbl2
	s_waitcnt vmcnt(0)
	global_atomic_add_x2 v[0:1], v[2:3], off offset:8
.LBB0_101:
	s_or_b64 exec, exec, s[16:17]
	s_waitcnt vmcnt(0)
	global_load_dwordx2 v[2:3], v[0:1], off offset:16
	s_waitcnt vmcnt(0)
	v_cmp_eq_u64_e32 vcc, 0, v[2:3]
	s_cbranch_vccnz .LBB0_103
; %bb.102:
	global_load_dword v0, v[0:1], off offset:24
	v_mov_b32_e32 v1, 0
	buffer_wbl2
	s_waitcnt vmcnt(0)
	global_store_dwordx2 v[2:3], v[0:1], off
	v_and_b32_e32 v0, 0xffffff, v0
	v_readfirstlane_b32 m0, v0
	s_sendmsg sendmsg(MSG_INTERRUPT)
.LBB0_103:
	s_or_b64 exec, exec, s[12:13]
	s_branch .LBB0_107
.LBB0_104:                              ;   in Loop: Header=BB0_107 Depth=1
	s_or_b64 exec, exec, s[12:13]
	v_readfirstlane_b32 s12, v0
	s_cmp_eq_u32 s12, 0
	s_cbranch_scc1 .LBB0_106
; %bb.105:                              ;   in Loop: Header=BB0_107 Depth=1
	s_sleep 1
	s_cbranch_execnz .LBB0_107
	s_branch .LBB0_110
.LBB0_106:
	s_branch .LBB0_110
.LBB0_107:                              ; =>This Inner Loop Header: Depth=1
	v_mov_b32_e32 v0, 1
	s_and_saveexec_b64 s[12:13], s[4:5]
	s_cbranch_execz .LBB0_104
; %bb.108:                              ;   in Loop: Header=BB0_107 Depth=1
	global_load_dword v0, v[8:9], off offset:20 glc
	s_waitcnt vmcnt(0)
	buffer_invl2
	buffer_wbinvl1_vol
	v_and_b32_e32 v0, 1, v0
	s_branch .LBB0_104
.LBB0_109:
	s_or_b64 exec, exec, s[6:7]
	s_waitcnt vmcnt(0) lgkmcnt(0)
	s_setpc_b64 s[30:31]
.LBB0_110:
	s_and_saveexec_b64 s[12:13], s[4:5]
	s_cbranch_execz .LBB0_113
; %bb.111:
	v_mov_b32_e32 v6, 0
	global_load_dwordx2 v[4:5], v6, s[8:9] offset:40
	global_load_dwordx2 v[8:9], v6, s[8:9] offset:24 glc
	global_load_dwordx2 v[10:11], v6, s[8:9]
	v_mov_b32_e32 v1, s11
	s_mov_b64 s[4:5], 0
	s_waitcnt vmcnt(2)
	v_add_co_u32_e32 v3, vcc, 1, v4
	v_addc_co_u32_e32 v7, vcc, 0, v5, vcc
	v_add_co_u32_e32 v0, vcc, s10, v3
	v_addc_co_u32_e32 v1, vcc, v7, v1, vcc
	v_cmp_eq_u64_e32 vcc, 0, v[0:1]
	v_cndmask_b32_e32 v1, v1, v7, vcc
	v_cndmask_b32_e32 v0, v0, v3, vcc
	v_and_b32_e32 v3, v1, v5
	v_and_b32_e32 v4, v0, v4
	v_mul_lo_u32 v3, v3, 24
	v_mul_hi_u32 v5, v4, 24
	v_mul_lo_u32 v4, v4, 24
	v_add_u32_e32 v3, v5, v3
	s_waitcnt vmcnt(0)
	v_add_co_u32_e32 v4, vcc, v10, v4
	v_addc_co_u32_e32 v5, vcc, v11, v3, vcc
	v_mov_b32_e32 v2, v8
	global_store_dwordx2 v[4:5], v[8:9], off
	v_mov_b32_e32 v3, v9
	buffer_wbl2
	s_waitcnt vmcnt(0)
	global_atomic_cmpswap_x2 v[2:3], v6, v[0:3], s[8:9] offset:24 glc
	s_waitcnt vmcnt(0)
	v_cmp_ne_u64_e32 vcc, v[2:3], v[8:9]
	s_and_b64 exec, exec, vcc
	s_cbranch_execz .LBB0_113
.LBB0_112:                              ; =>This Inner Loop Header: Depth=1
	s_sleep 1
	global_store_dwordx2 v[4:5], v[2:3], off
	buffer_wbl2
	s_waitcnt vmcnt(0)
	global_atomic_cmpswap_x2 v[8:9], v6, v[0:3], s[8:9] offset:24 glc
	s_waitcnt vmcnt(0)
	v_cmp_eq_u64_e32 vcc, v[8:9], v[2:3]
	s_or_b64 s[4:5], vcc, s[4:5]
	v_pk_mov_b32 v[2:3], v[8:9], v[8:9] op_sel:[0,1]
	s_andn2_b64 exec, exec, s[4:5]
	s_cbranch_execnz .LBB0_112
.LBB0_113:
	s_or_b64 exec, exec, s[12:13]
	s_or_b64 exec, exec, s[6:7]
	s_waitcnt vmcnt(0) lgkmcnt(0)
	s_setpc_b64 s[30:31]
.Lfunc_end0:
	.size	__ockl_fprintf_append_string_n, .Lfunc_end0-__ockl_fprintf_append_string_n
                                        ; -- End function
	.section	.AMDGPU.csdata,"",@progbits
; Function info:
; codeLenInByte = 4372
; NumSgprs: 36
; NumVgprs: 38
; NumAgprs: 0
; TotalNumVgprs: 38
; ScratchSize: 0
; MemoryBound: 0
	.text
	.p2align	2                               ; -- Begin function __assert_fail
	.type	__assert_fail,@function
__assert_fail:                          ; @__assert_fail
; %bb.0:
	s_waitcnt vmcnt(0) expcnt(0) lgkmcnt(0)
	s_mov_b32 s25, s33
	s_mov_b32 s33, s32
	s_or_saveexec_b64 s[4:5], -1
	buffer_store_dword v40, off, s[0:3], s33 offset:48 ; 4-byte Folded Spill
	s_mov_b64 exec, s[4:5]
	v_writelane_b32 v40, s30, 0
	s_addk_i32 s32, 0x1000
	v_writelane_b32 v40, s31, 1
	s_getpc_b64 s[4:5]
	s_add_u32 s4, s4, __const.__assert_fail.fmt@rel32@lo+4
	s_addc_u32 s5, s5, __const.__assert_fail.fmt@rel32@hi+12
	s_load_dwordx4 s[4:7], s[4:5], 0x0
	v_mov_b32_e32 v4, v0
	v_mov_b32_e32 v0, 0xa2e
	buffer_store_short v0, off, s[0:3], s33 offset:44
	v_mov_b32_e32 v0, 0x64656c69
	buffer_store_dword v0, off, s[0:3], s33 offset:40
	v_mov_b32_e32 v0, 0x61662027
	s_getpc_b64 s[10:11]
	s_add_u32 s10, s10, __const.__assert_fail.fmt@rel32@lo+20
	s_addc_u32 s11, s11, __const.__assert_fail.fmt@rel32@hi+28
	buffer_store_dword v0, off, s[0:3], s33 offset:36
	v_mov_b32_e32 v0, 0x73256020
	s_load_dwordx4 s[12:15], s[10:11], 0x0
	buffer_store_dword v0, off, s[0:3], s33 offset:32
	s_waitcnt lgkmcnt(0)
	v_mov_b32_e32 v0, s7
	buffer_store_dword v0, off, s[0:3], s33 offset:12
	v_mov_b32_e32 v0, s6
	buffer_store_dword v0, off, s[0:3], s33 offset:8
	v_mov_b32_e32 v0, s5
	buffer_store_dword v0, off, s[0:3], s33 offset:4
	v_mov_b32_e32 v0, s4
	buffer_store_dword v0, off, s[0:3], s33
	v_mov_b32_e32 v0, s15
	buffer_store_dword v0, off, s[0:3], s33 offset:28
	v_mov_b32_e32 v0, s14
	buffer_store_dword v0, off, s[0:3], s33 offset:24
	;; [unrolled: 2-line block ×3, first 2 shown]
	v_mov_b32_e32 v0, s12
	s_load_dwordx2 s[10:11], s[8:9], 0x50
	buffer_store_dword v0, off, s[0:3], s33 offset:16
	v_mbcnt_lo_u32_b32 v0, -1, 0
	v_mbcnt_hi_u32_b32 v37, -1, v0
	v_readfirstlane_b32 s4, v37
	v_mov_b32_e32 v5, v1
	v_mov_b32_e32 v8, 0
	v_cmp_eq_u32_e64 s[4:5], s4, v37
	v_pk_mov_b32 v[6:7], 0, 0
	buffer_store_byte v8, off, s[0:3], s33 offset:46
	s_and_saveexec_b64 s[6:7], s[4:5]
	s_cbranch_execz .LBB1_6
; %bb.1:
	s_waitcnt lgkmcnt(0)
	global_load_dwordx2 v[2:3], v8, s[10:11] offset:24 glc
	s_waitcnt vmcnt(0)
	buffer_invl2
	buffer_wbinvl1_vol
	global_load_dwordx2 v[0:1], v8, s[10:11] offset:40
	global_load_dwordx2 v[6:7], v8, s[10:11]
	s_waitcnt vmcnt(1)
	v_and_b32_e32 v0, v0, v2
	v_and_b32_e32 v1, v1, v3
	v_mul_lo_u32 v1, v1, 24
	v_mul_hi_u32 v9, v0, 24
	v_mul_lo_u32 v0, v0, 24
	v_add_u32_e32 v1, v9, v1
	s_waitcnt vmcnt(0)
	v_add_co_u32_e32 v0, vcc, v6, v0
	v_addc_co_u32_e32 v1, vcc, v7, v1, vcc
	global_load_dwordx2 v[0:1], v[0:1], off glc
	s_waitcnt vmcnt(0)
	global_atomic_cmpswap_x2 v[6:7], v8, v[0:3], s[10:11] offset:24 glc
	s_waitcnt vmcnt(0)
	buffer_invl2
	buffer_wbinvl1_vol
	v_cmp_ne_u64_e32 vcc, v[6:7], v[2:3]
	s_and_saveexec_b64 s[12:13], vcc
	s_cbranch_execz .LBB1_5
; %bb.2:
	s_mov_b64 s[14:15], 0
.LBB1_3:                                ; =>This Inner Loop Header: Depth=1
	s_sleep 1
	global_load_dwordx2 v[0:1], v8, s[10:11] offset:40
	global_load_dwordx2 v[10:11], v8, s[10:11]
	v_pk_mov_b32 v[2:3], v[6:7], v[6:7] op_sel:[0,1]
	s_waitcnt vmcnt(1)
	v_and_b32_e32 v0, v0, v2
	v_and_b32_e32 v7, v1, v3
	s_waitcnt vmcnt(0)
	v_mad_u64_u32 v[0:1], s[16:17], v0, 24, v[10:11]
	v_mov_b32_e32 v6, v1
	v_mad_u64_u32 v[6:7], s[16:17], v7, 24, v[6:7]
	v_mov_b32_e32 v1, v6
	global_load_dwordx2 v[0:1], v[0:1], off glc
	s_waitcnt vmcnt(0)
	global_atomic_cmpswap_x2 v[6:7], v8, v[0:3], s[10:11] offset:24 glc
	s_waitcnt vmcnt(0)
	buffer_invl2
	buffer_wbinvl1_vol
	v_cmp_eq_u64_e32 vcc, v[6:7], v[2:3]
	s_or_b64 s[14:15], vcc, s[14:15]
	s_andn2_b64 exec, exec, s[14:15]
	s_cbranch_execnz .LBB1_3
; %bb.4:
	s_or_b64 exec, exec, s[14:15]
.LBB1_5:
	s_or_b64 exec, exec, s[12:13]
.LBB1_6:
	s_or_b64 exec, exec, s[6:7]
	s_waitcnt lgkmcnt(0)
	global_load_dwordx2 v[10:11], v8, s[10:11] offset:40
	global_load_dwordx4 v[0:3], v8, s[10:11]
	v_readfirstlane_b32 s6, v6
	v_readfirstlane_b32 s7, v7
	s_mov_b64 s[12:13], exec
	s_waitcnt vmcnt(1)
	v_readfirstlane_b32 s14, v10
	v_readfirstlane_b32 s15, v11
	s_and_b64 s[14:15], s[6:7], s[14:15]
	s_mul_i32 s16, s15, 24
	s_mul_hi_u32 s17, s14, 24
	s_mul_i32 s18, s14, 24
	s_add_i32 s16, s17, s16
	v_mov_b32_e32 v6, s16
	s_waitcnt vmcnt(0)
	v_add_co_u32_e32 v10, vcc, s18, v0
	v_addc_co_u32_e32 v11, vcc, v1, v6, vcc
	s_and_saveexec_b64 s[16:17], s[4:5]
	s_cbranch_execz .LBB1_8
; %bb.7:
	v_pk_mov_b32 v[6:7], s[12:13], s[12:13] op_sel:[0,1]
	v_mov_b32_e32 v8, 2
	v_mov_b32_e32 v9, 1
	global_store_dwordx4 v[10:11], v[6:9], off offset:8
.LBB1_8:
	s_or_b64 exec, exec, s[16:17]
	s_lshl_b64 s[12:13], s[14:15], 12
	v_mov_b32_e32 v6, s13
	v_add_co_u32_e32 v2, vcc, s12, v2
	s_mov_b32 s12, 0
	v_addc_co_u32_e32 v3, vcc, v3, v6, vcc
	v_lshlrev_b32_e32 v36, 6, v37
	s_mov_b32 s14, s12
	s_mov_b32 s15, s12
	v_mov_b32_e32 v7, 0
	v_add_co_u32_e32 v12, vcc, v2, v36
	s_mov_b32 s13, s12
	v_pk_mov_b32 v[16:17], s[14:15], s[14:15] op_sel:[0,1]
	v_addc_co_u32_e32 v13, vcc, 0, v3, vcc
	v_mov_b32_e32 v6, 33
	v_mov_b32_e32 v8, 1
	;; [unrolled: 1-line block ×3, first 2 shown]
	v_readfirstlane_b32 s16, v2
	v_readfirstlane_b32 s17, v3
	v_pk_mov_b32 v[14:15], s[12:13], s[12:13] op_sel:[0,1]
	s_nop 3
	global_store_dwordx4 v36, v[6:9], s[16:17]
	global_store_dwordx4 v36, v[14:17], s[16:17] offset:16
	global_store_dwordx4 v36, v[14:17], s[16:17] offset:32
	global_store_dwordx4 v36, v[14:17], s[16:17] offset:48
	s_and_saveexec_b64 s[12:13], s[4:5]
	s_cbranch_execz .LBB1_16
; %bb.9:
	global_load_dwordx2 v[16:17], v7, s[10:11] offset:32 glc
	global_load_dwordx2 v[2:3], v7, s[10:11] offset:40
	v_mov_b32_e32 v14, s6
	v_mov_b32_e32 v15, s7
	s_waitcnt vmcnt(0)
	v_and_b32_e32 v2, s6, v2
	v_and_b32_e32 v3, s7, v3
	v_mul_lo_u32 v3, v3, 24
	v_mul_hi_u32 v6, v2, 24
	v_mul_lo_u32 v2, v2, 24
	v_add_u32_e32 v3, v6, v3
	v_add_co_u32_e32 v8, vcc, v0, v2
	v_addc_co_u32_e32 v9, vcc, v1, v3, vcc
	global_store_dwordx2 v[8:9], v[16:17], off
	buffer_wbl2
	s_waitcnt vmcnt(0)
	global_atomic_cmpswap_x2 v[2:3], v7, v[14:17], s[10:11] offset:32 glc
	s_waitcnt vmcnt(0)
	v_cmp_ne_u64_e32 vcc, v[2:3], v[16:17]
	s_and_saveexec_b64 s[14:15], vcc
	s_cbranch_execz .LBB1_12
; %bb.10:
	s_mov_b64 s[16:17], 0
.LBB1_11:                               ; =>This Inner Loop Header: Depth=1
	s_sleep 1
	global_store_dwordx2 v[8:9], v[2:3], off
	v_mov_b32_e32 v0, s6
	v_mov_b32_e32 v1, s7
	buffer_wbl2
	s_waitcnt vmcnt(0)
	global_atomic_cmpswap_x2 v[0:1], v7, v[0:3], s[10:11] offset:32 glc
	s_waitcnt vmcnt(0)
	v_cmp_eq_u64_e32 vcc, v[0:1], v[2:3]
	s_or_b64 s[16:17], vcc, s[16:17]
	v_pk_mov_b32 v[2:3], v[0:1], v[0:1] op_sel:[0,1]
	s_andn2_b64 exec, exec, s[16:17]
	s_cbranch_execnz .LBB1_11
.LBB1_12:
	s_or_b64 exec, exec, s[14:15]
	v_mov_b32_e32 v3, 0
	global_load_dwordx2 v[0:1], v3, s[10:11] offset:16
	s_mov_b64 s[14:15], exec
	v_mbcnt_lo_u32_b32 v2, s14, 0
	v_mbcnt_hi_u32_b32 v2, s15, v2
	v_cmp_eq_u32_e32 vcc, 0, v2
	s_and_saveexec_b64 s[16:17], vcc
	s_cbranch_execz .LBB1_14
; %bb.13:
	s_bcnt1_i32_b64 s14, s[14:15]
	v_mov_b32_e32 v2, s14
	buffer_wbl2
	s_waitcnt vmcnt(0)
	global_atomic_add_x2 v[0:1], v[2:3], off offset:8
.LBB1_14:
	s_or_b64 exec, exec, s[16:17]
	s_waitcnt vmcnt(0)
	global_load_dwordx2 v[2:3], v[0:1], off offset:16
	s_waitcnt vmcnt(0)
	v_cmp_eq_u64_e32 vcc, 0, v[2:3]
	s_cbranch_vccnz .LBB1_16
; %bb.15:
	global_load_dword v0, v[0:1], off offset:24
	v_mov_b32_e32 v1, 0
	buffer_wbl2
	s_waitcnt vmcnt(0)
	global_store_dwordx2 v[2:3], v[0:1], off
	v_and_b32_e32 v0, 0xffffff, v0
	v_readfirstlane_b32 m0, v0
	s_sendmsg sendmsg(MSG_INTERRUPT)
.LBB1_16:
	s_or_b64 exec, exec, s[12:13]
	s_branch .LBB1_20
.LBB1_17:                               ;   in Loop: Header=BB1_20 Depth=1
	s_or_b64 exec, exec, s[12:13]
	v_readfirstlane_b32 s12, v0
	s_cmp_eq_u32 s12, 0
	s_cbranch_scc1 .LBB1_19
; %bb.18:                               ;   in Loop: Header=BB1_20 Depth=1
	s_sleep 1
	s_cbranch_execnz .LBB1_20
	s_branch .LBB1_22
.LBB1_19:
	s_branch .LBB1_22
.LBB1_20:                               ; =>This Inner Loop Header: Depth=1
	v_mov_b32_e32 v0, 1
	s_and_saveexec_b64 s[12:13], s[4:5]
	s_cbranch_execz .LBB1_17
; %bb.21:                               ;   in Loop: Header=BB1_20 Depth=1
	global_load_dword v0, v[10:11], off offset:20 glc
	s_waitcnt vmcnt(0)
	buffer_invl2
	buffer_wbinvl1_vol
	v_and_b32_e32 v0, 1, v0
	s_branch .LBB1_17
.LBB1_22:
	global_load_dwordx2 v[6:7], v[12:13], off
	s_and_saveexec_b64 s[12:13], s[4:5]
	s_cbranch_execz .LBB1_25
; %bb.23:
	v_mov_b32_e32 v10, 0
	global_load_dwordx2 v[8:9], v10, s[10:11] offset:40
	global_load_dwordx2 v[12:13], v10, s[10:11] offset:24 glc
	global_load_dwordx2 v[14:15], v10, s[10:11]
	v_mov_b32_e32 v1, s7
	s_mov_b64 s[4:5], 0
	s_waitcnt vmcnt(2)
	v_add_co_u32_e32 v3, vcc, 1, v8
	v_addc_co_u32_e32 v11, vcc, 0, v9, vcc
	v_add_co_u32_e32 v0, vcc, s6, v3
	v_addc_co_u32_e32 v1, vcc, v11, v1, vcc
	v_cmp_eq_u64_e32 vcc, 0, v[0:1]
	v_cndmask_b32_e32 v1, v1, v11, vcc
	v_cndmask_b32_e32 v0, v0, v3, vcc
	v_and_b32_e32 v3, v1, v9
	v_and_b32_e32 v8, v0, v8
	v_mul_lo_u32 v3, v3, 24
	v_mul_hi_u32 v9, v8, 24
	v_mul_lo_u32 v8, v8, 24
	v_add_u32_e32 v3, v9, v3
	s_waitcnt vmcnt(0)
	v_add_co_u32_e32 v8, vcc, v14, v8
	v_addc_co_u32_e32 v9, vcc, v15, v3, vcc
	v_mov_b32_e32 v2, v12
	global_store_dwordx2 v[8:9], v[12:13], off
	v_mov_b32_e32 v3, v13
	buffer_wbl2
	s_waitcnt vmcnt(0)
	global_atomic_cmpswap_x2 v[2:3], v10, v[0:3], s[10:11] offset:24 glc
	s_waitcnt vmcnt(0)
	v_cmp_ne_u64_e32 vcc, v[2:3], v[12:13]
	s_and_b64 exec, exec, vcc
	s_cbranch_execz .LBB1_25
.LBB1_24:                               ; =>This Inner Loop Header: Depth=1
	s_sleep 1
	global_store_dwordx2 v[8:9], v[2:3], off
	buffer_wbl2
	s_waitcnt vmcnt(0)
	global_atomic_cmpswap_x2 v[12:13], v10, v[0:3], s[10:11] offset:24 glc
	s_waitcnt vmcnt(0)
	v_cmp_eq_u64_e32 vcc, v[12:13], v[2:3]
	s_or_b64 s[4:5], vcc, s[4:5]
	v_pk_mov_b32 v[2:3], v[12:13], v[12:13] op_sel:[0,1]
	s_andn2_b64 exec, exec, s[4:5]
	s_cbranch_execnz .LBB1_24
.LBB1_25:
	s_or_b64 exec, exec, s[12:13]
	v_lshrrev_b32_e64 v1, 6, s33
	s_mov_b64 s[4:5], 0
.LBB1_26:                               ; =>This Inner Loop Header: Depth=1
	buffer_load_ubyte v2, v1, s[0:3], 0 offen
	v_add_u32_e32 v0, 1, v1
	v_mov_b32_e32 v1, v0
	s_waitcnt vmcnt(0)
	v_cmp_eq_u16_e32 vcc, 0, v2
	s_or_b64 s[4:5], vcc, s[4:5]
	s_andn2_b64 exec, exec, s[4:5]
	s_cbranch_execnz .LBB1_26
; %bb.27:
	s_or_b64 exec, exec, s[4:5]
	v_lshrrev_b32_e64 v31, 6, s33
	v_cmp_ne_u32_e32 vcc, -1, v31
	s_cbranch_vccz .LBB1_112
; %bb.28:
	v_lshrrev_b32_e64 v1, 6, s33
	v_subrev_u32_e32 v28, v1, v0
	v_ashrrev_i32_e32 v29, 31, v28
	v_and_b32_e32 v30, 2, v6
	v_mov_b32_e32 v33, 0
	v_and_b32_e32 v0, -3, v6
	v_mov_b32_e32 v1, v7
	s_mov_b64 s[12:13], 0
	s_mov_b32 s20, 0
	s_movk_i32 s21, 0xff1f
	v_mov_b32_e32 v10, 2
	v_mov_b32_e32 v11, 1
	s_branch .LBB1_30
.LBB1_29:                               ;   in Loop: Header=BB1_30 Depth=1
	s_or_b64 exec, exec, s[6:7]
	v_sub_co_u32_e32 v28, vcc, v28, v38
	v_subb_co_u32_e32 v29, vcc, v29, v39, vcc
	v_cmp_eq_u64_e32 vcc, 0, v[28:29]
	s_or_b64 s[12:13], vcc, s[12:13]
	v_add_u32_e32 v31, v31, v38
	s_andn2_b64 exec, exec, s[12:13]
	s_cbranch_execz .LBB1_113
.LBB1_30:                               ; =>This Loop Header: Depth=1
                                        ;     Child Loop BB1_33 Depth 2
                                        ;     Child Loop BB1_41 Depth 2
	;; [unrolled: 1-line block ×11, first 2 shown]
	v_cmp_gt_u64_e32 vcc, 56, v[28:29]
	v_cndmask_b32_e32 v38, 56, v28, vcc
	v_cmp_gt_u64_e64 s[4:5], 8, v[28:29]
                                        ; implicit-def: $vgpr2_vgpr3
                                        ; implicit-def: $sgpr14
	s_and_saveexec_b64 s[6:7], s[4:5]
	s_xor_b64 s[6:7], exec, s[6:7]
	s_cbranch_execz .LBB1_36
; %bb.31:                               ;   in Loop: Header=BB1_30 Depth=1
	s_mov_b64 s[16:17], 0
	v_cmp_ne_u64_e64 s[4:5], 0, v[28:29]
	s_waitcnt vmcnt(0)
	v_pk_mov_b32 v[2:3], 0, 0
	s_and_saveexec_b64 s[14:15], s[4:5]
	s_cbranch_execz .LBB1_35
; %bb.32:                               ;   in Loop: Header=BB1_30 Depth=1
	s_mov_b32 s22, 0
	v_pk_mov_b32 v[2:3], 0, 0
	s_mov_b64 s[18:19], 0
.LBB1_33:                               ;   Parent Loop BB1_30 Depth=1
                                        ; =>  This Inner Loop Header: Depth=2
	v_add_u32_e32 v8, s22, v31
	buffer_load_ubyte v8, v8, s[0:3], 0 offen
	v_mov_b32_e32 v9, s20
	s_add_i32 s22, s22, 1
	v_cmp_eq_u32_e64 s[4:5], s22, v38
	s_waitcnt vmcnt(0)
	v_and_b32_e32 v8, 0xffff, v8
	v_lshlrev_b64 v[8:9], s18, v[8:9]
	s_add_u32 s18, s18, 8
	s_addc_u32 s19, s19, 0
	v_or_b32_e32 v3, v9, v3
	s_or_b64 s[16:17], s[4:5], s[16:17]
	v_or_b32_e32 v2, v8, v2
	s_andn2_b64 exec, exec, s[16:17]
	s_cbranch_execnz .LBB1_33
; %bb.34:                               ;   in Loop: Header=BB1_30 Depth=1
	s_or_b64 exec, exec, s[16:17]
.LBB1_35:                               ;   in Loop: Header=BB1_30 Depth=1
	s_or_b64 exec, exec, s[14:15]
	s_mov_b32 s14, 0
.LBB1_36:                               ;   in Loop: Header=BB1_30 Depth=1
	s_or_saveexec_b64 s[4:5], s[6:7]
	v_mov_b32_e32 v9, s14
	v_mov_b32_e32 v8, v31
	s_xor_b64 exec, exec, s[4:5]
	s_cbranch_execz .LBB1_38
; %bb.37:                               ;   in Loop: Header=BB1_30 Depth=1
	buffer_load_dword v2, v31, s[0:3], 0 offen offset:4
	buffer_load_dword v3, v31, s[0:3], 0 offen
	v_add_u32_e32 v9, -8, v38
	s_waitcnt vmcnt(1)
	v_and_b32_e32 v8, 0xff, v2
	v_and_b32_e32 v12, 0xff00, v2
	s_waitcnt vmcnt(0)
	v_or3_b32 v3, v3, 0, 0
	v_and_b32_e32 v13, 0xff0000, v2
	v_and_b32_e32 v14, 0xff000000, v2
	v_or3_b32 v8, 0, v8, v12
	v_or3_b32 v2, v3, 0, 0
	;; [unrolled: 1-line block ×3, first 2 shown]
	v_add_u32_e32 v8, 8, v31
.LBB1_38:                               ;   in Loop: Header=BB1_30 Depth=1
	s_or_b64 exec, exec, s[4:5]
	v_cmp_gt_u32_e64 s[4:5], 8, v9
                                        ; implicit-def: $vgpr12_vgpr13
                                        ; implicit-def: $sgpr14
	s_and_saveexec_b64 s[6:7], s[4:5]
	s_xor_b64 s[6:7], exec, s[6:7]
	s_cbranch_execz .LBB1_44
; %bb.39:                               ;   in Loop: Header=BB1_30 Depth=1
	v_cmp_ne_u32_e64 s[4:5], 0, v9
	v_pk_mov_b32 v[12:13], 0, 0
	s_and_saveexec_b64 s[14:15], s[4:5]
	s_cbranch_execz .LBB1_43
; %bb.40:                               ;   in Loop: Header=BB1_30 Depth=1
	s_mov_b32 s22, 0
	s_mov_b64 s[16:17], 0
	v_pk_mov_b32 v[12:13], 0, 0
	s_mov_b64 s[18:19], 0
.LBB1_41:                               ;   Parent Loop BB1_30 Depth=1
                                        ; =>  This Inner Loop Header: Depth=2
	v_add_u32_e32 v14, s22, v8
	buffer_load_ubyte v14, v14, s[0:3], 0 offen
	v_mov_b32_e32 v15, s20
	s_add_i32 s22, s22, 1
	v_cmp_eq_u32_e64 s[4:5], s22, v9
	s_waitcnt vmcnt(0)
	v_and_b32_e32 v14, 0xffff, v14
	v_lshlrev_b64 v[14:15], s18, v[14:15]
	s_add_u32 s18, s18, 8
	s_addc_u32 s19, s19, 0
	v_or_b32_e32 v13, v15, v13
	s_or_b64 s[16:17], s[4:5], s[16:17]
	v_or_b32_e32 v12, v14, v12
	s_andn2_b64 exec, exec, s[16:17]
	s_cbranch_execnz .LBB1_41
; %bb.42:                               ;   in Loop: Header=BB1_30 Depth=1
	s_or_b64 exec, exec, s[16:17]
.LBB1_43:                               ;   in Loop: Header=BB1_30 Depth=1
	s_or_b64 exec, exec, s[14:15]
	s_mov_b32 s14, 0
                                        ; implicit-def: $vgpr9
.LBB1_44:                               ;   in Loop: Header=BB1_30 Depth=1
	s_or_saveexec_b64 s[4:5], s[6:7]
	v_mov_b32_e32 v16, s14
	s_xor_b64 exec, exec, s[4:5]
	s_cbranch_execz .LBB1_46
; %bb.45:                               ;   in Loop: Header=BB1_30 Depth=1
	buffer_load_dword v12, v8, s[0:3], 0 offen offset:4
	buffer_load_dword v13, v8, s[0:3], 0 offen
	v_add_u32_e32 v16, -8, v9
	v_add_u32_e32 v8, 8, v8
	s_waitcnt vmcnt(1)
	v_and_b32_e32 v9, 0xff, v12
	v_and_b32_e32 v14, 0xff00, v12
	s_waitcnt vmcnt(0)
	v_or3_b32 v13, v13, 0, 0
	v_and_b32_e32 v15, 0xff0000, v12
	v_and_b32_e32 v17, 0xff000000, v12
	v_or3_b32 v9, 0, v9, v14
	v_or3_b32 v12, v13, 0, 0
	;; [unrolled: 1-line block ×3, first 2 shown]
.LBB1_46:                               ;   in Loop: Header=BB1_30 Depth=1
	s_or_b64 exec, exec, s[4:5]
	v_cmp_gt_u32_e64 s[4:5], 8, v16
                                        ; implicit-def: $sgpr14
	s_and_saveexec_b64 s[6:7], s[4:5]
	s_xor_b64 s[6:7], exec, s[6:7]
	s_cbranch_execz .LBB1_52
; %bb.47:                               ;   in Loop: Header=BB1_30 Depth=1
	v_cmp_ne_u32_e64 s[4:5], 0, v16
	v_pk_mov_b32 v[14:15], 0, 0
	s_and_saveexec_b64 s[14:15], s[4:5]
	s_cbranch_execz .LBB1_51
; %bb.48:                               ;   in Loop: Header=BB1_30 Depth=1
	s_mov_b32 s22, 0
	s_mov_b64 s[16:17], 0
	v_pk_mov_b32 v[14:15], 0, 0
	s_mov_b64 s[18:19], 0
.LBB1_49:                               ;   Parent Loop BB1_30 Depth=1
                                        ; =>  This Inner Loop Header: Depth=2
	v_add_u32_e32 v9, s22, v8
	buffer_load_ubyte v9, v9, s[0:3], 0 offen
	v_mov_b32_e32 v19, s20
	s_add_i32 s22, s22, 1
	v_cmp_eq_u32_e64 s[4:5], s22, v16
	s_waitcnt vmcnt(0)
	v_and_b32_e32 v18, 0xffff, v9
	v_lshlrev_b64 v[18:19], s18, v[18:19]
	s_add_u32 s18, s18, 8
	s_addc_u32 s19, s19, 0
	v_or_b32_e32 v15, v19, v15
	s_or_b64 s[16:17], s[4:5], s[16:17]
	v_or_b32_e32 v14, v18, v14
	s_andn2_b64 exec, exec, s[16:17]
	s_cbranch_execnz .LBB1_49
; %bb.50:                               ;   in Loop: Header=BB1_30 Depth=1
	s_or_b64 exec, exec, s[16:17]
.LBB1_51:                               ;   in Loop: Header=BB1_30 Depth=1
	s_or_b64 exec, exec, s[14:15]
	s_mov_b32 s14, 0
                                        ; implicit-def: $vgpr16
.LBB1_52:                               ;   in Loop: Header=BB1_30 Depth=1
	s_or_saveexec_b64 s[4:5], s[6:7]
	v_mov_b32_e32 v9, s14
	s_xor_b64 exec, exec, s[4:5]
	s_cbranch_execz .LBB1_54
; %bb.53:                               ;   in Loop: Header=BB1_30 Depth=1
	buffer_load_dword v14, v8, s[0:3], 0 offen offset:4
	buffer_load_dword v15, v8, s[0:3], 0 offen
	v_add_u32_e32 v9, -8, v16
	v_add_u32_e32 v8, 8, v8
	s_waitcnt vmcnt(1)
	v_and_b32_e32 v16, 0xff, v14
	v_and_b32_e32 v17, 0xff00, v14
	s_waitcnt vmcnt(0)
	v_or3_b32 v15, v15, 0, 0
	v_and_b32_e32 v18, 0xff0000, v14
	v_and_b32_e32 v19, 0xff000000, v14
	v_or3_b32 v16, 0, v16, v17
	v_or3_b32 v14, v15, 0, 0
	;; [unrolled: 1-line block ×3, first 2 shown]
.LBB1_54:                               ;   in Loop: Header=BB1_30 Depth=1
	s_or_b64 exec, exec, s[4:5]
	v_cmp_gt_u32_e64 s[4:5], 8, v9
                                        ; implicit-def: $vgpr16_vgpr17
                                        ; implicit-def: $sgpr14
	s_and_saveexec_b64 s[6:7], s[4:5]
	s_xor_b64 s[6:7], exec, s[6:7]
	s_cbranch_execz .LBB1_60
; %bb.55:                               ;   in Loop: Header=BB1_30 Depth=1
	v_cmp_ne_u32_e64 s[4:5], 0, v9
	v_pk_mov_b32 v[16:17], 0, 0
	s_and_saveexec_b64 s[14:15], s[4:5]
	s_cbranch_execz .LBB1_59
; %bb.56:                               ;   in Loop: Header=BB1_30 Depth=1
	s_mov_b32 s22, 0
	s_mov_b64 s[16:17], 0
	v_pk_mov_b32 v[16:17], 0, 0
	s_mov_b64 s[18:19], 0
.LBB1_57:                               ;   Parent Loop BB1_30 Depth=1
                                        ; =>  This Inner Loop Header: Depth=2
	v_add_u32_e32 v18, s22, v8
	buffer_load_ubyte v18, v18, s[0:3], 0 offen
	v_mov_b32_e32 v19, s20
	s_add_i32 s22, s22, 1
	v_cmp_eq_u32_e64 s[4:5], s22, v9
	s_waitcnt vmcnt(0)
	v_and_b32_e32 v18, 0xffff, v18
	v_lshlrev_b64 v[18:19], s18, v[18:19]
	s_add_u32 s18, s18, 8
	s_addc_u32 s19, s19, 0
	v_or_b32_e32 v17, v19, v17
	s_or_b64 s[16:17], s[4:5], s[16:17]
	v_or_b32_e32 v16, v18, v16
	s_andn2_b64 exec, exec, s[16:17]
	s_cbranch_execnz .LBB1_57
; %bb.58:                               ;   in Loop: Header=BB1_30 Depth=1
	s_or_b64 exec, exec, s[16:17]
.LBB1_59:                               ;   in Loop: Header=BB1_30 Depth=1
	s_or_b64 exec, exec, s[14:15]
	s_mov_b32 s14, 0
                                        ; implicit-def: $vgpr9
.LBB1_60:                               ;   in Loop: Header=BB1_30 Depth=1
	s_or_saveexec_b64 s[4:5], s[6:7]
	v_mov_b32_e32 v20, s14
	s_xor_b64 exec, exec, s[4:5]
	s_cbranch_execz .LBB1_62
; %bb.61:                               ;   in Loop: Header=BB1_30 Depth=1
	buffer_load_dword v16, v8, s[0:3], 0 offen offset:4
	buffer_load_dword v17, v8, s[0:3], 0 offen
	v_add_u32_e32 v20, -8, v9
	v_add_u32_e32 v8, 8, v8
	s_waitcnt vmcnt(1)
	v_and_b32_e32 v9, 0xff, v16
	v_and_b32_e32 v18, 0xff00, v16
	s_waitcnt vmcnt(0)
	v_or3_b32 v17, v17, 0, 0
	v_and_b32_e32 v19, 0xff0000, v16
	v_and_b32_e32 v21, 0xff000000, v16
	v_or3_b32 v9, 0, v9, v18
	v_or3_b32 v16, v17, 0, 0
	v_or3_b32 v17, v9, v19, v21
.LBB1_62:                               ;   in Loop: Header=BB1_30 Depth=1
	s_or_b64 exec, exec, s[4:5]
	v_cmp_gt_u32_e64 s[4:5], 8, v20
                                        ; implicit-def: $sgpr14
	s_and_saveexec_b64 s[6:7], s[4:5]
	s_xor_b64 s[6:7], exec, s[6:7]
	s_cbranch_execz .LBB1_68
; %bb.63:                               ;   in Loop: Header=BB1_30 Depth=1
	v_cmp_ne_u32_e64 s[4:5], 0, v20
	v_pk_mov_b32 v[18:19], 0, 0
	s_and_saveexec_b64 s[14:15], s[4:5]
	s_cbranch_execz .LBB1_67
; %bb.64:                               ;   in Loop: Header=BB1_30 Depth=1
	s_mov_b32 s22, 0
	s_mov_b64 s[16:17], 0
	v_pk_mov_b32 v[18:19], 0, 0
	s_mov_b64 s[18:19], 0
.LBB1_65:                               ;   Parent Loop BB1_30 Depth=1
                                        ; =>  This Inner Loop Header: Depth=2
	v_add_u32_e32 v9, s22, v8
	buffer_load_ubyte v9, v9, s[0:3], 0 offen
	v_mov_b32_e32 v23, s20
	s_add_i32 s22, s22, 1
	v_cmp_eq_u32_e64 s[4:5], s22, v20
	s_waitcnt vmcnt(0)
	v_and_b32_e32 v22, 0xffff, v9
	v_lshlrev_b64 v[22:23], s18, v[22:23]
	s_add_u32 s18, s18, 8
	s_addc_u32 s19, s19, 0
	v_or_b32_e32 v19, v23, v19
	s_or_b64 s[16:17], s[4:5], s[16:17]
	v_or_b32_e32 v18, v22, v18
	s_andn2_b64 exec, exec, s[16:17]
	s_cbranch_execnz .LBB1_65
; %bb.66:                               ;   in Loop: Header=BB1_30 Depth=1
	s_or_b64 exec, exec, s[16:17]
.LBB1_67:                               ;   in Loop: Header=BB1_30 Depth=1
	s_or_b64 exec, exec, s[14:15]
	s_mov_b32 s14, 0
                                        ; implicit-def: $vgpr20
.LBB1_68:                               ;   in Loop: Header=BB1_30 Depth=1
	s_or_saveexec_b64 s[4:5], s[6:7]
	v_mov_b32_e32 v9, s14
	s_xor_b64 exec, exec, s[4:5]
	s_cbranch_execz .LBB1_70
; %bb.69:                               ;   in Loop: Header=BB1_30 Depth=1
	buffer_load_dword v18, v8, s[0:3], 0 offen offset:4
	buffer_load_dword v19, v8, s[0:3], 0 offen
	v_add_u32_e32 v9, -8, v20
	v_add_u32_e32 v8, 8, v8
	s_waitcnt vmcnt(1)
	v_and_b32_e32 v20, 0xff, v18
	v_and_b32_e32 v21, 0xff00, v18
	s_waitcnt vmcnt(0)
	v_or3_b32 v19, v19, 0, 0
	v_and_b32_e32 v22, 0xff0000, v18
	v_and_b32_e32 v23, 0xff000000, v18
	v_or3_b32 v20, 0, v20, v21
	v_or3_b32 v18, v19, 0, 0
	v_or3_b32 v19, v20, v22, v23
.LBB1_70:                               ;   in Loop: Header=BB1_30 Depth=1
	s_or_b64 exec, exec, s[4:5]
	v_cmp_gt_u32_e64 s[4:5], 8, v9
                                        ; implicit-def: $vgpr20_vgpr21
                                        ; implicit-def: $sgpr14
	s_and_saveexec_b64 s[6:7], s[4:5]
	s_xor_b64 s[6:7], exec, s[6:7]
	s_cbranch_execz .LBB1_76
; %bb.71:                               ;   in Loop: Header=BB1_30 Depth=1
	v_cmp_ne_u32_e64 s[4:5], 0, v9
	v_pk_mov_b32 v[20:21], 0, 0
	s_and_saveexec_b64 s[14:15], s[4:5]
	s_cbranch_execz .LBB1_75
; %bb.72:                               ;   in Loop: Header=BB1_30 Depth=1
	s_mov_b32 s22, 0
	s_mov_b64 s[16:17], 0
	v_pk_mov_b32 v[20:21], 0, 0
	s_mov_b64 s[18:19], 0
.LBB1_73:                               ;   Parent Loop BB1_30 Depth=1
                                        ; =>  This Inner Loop Header: Depth=2
	v_add_u32_e32 v22, s22, v8
	buffer_load_ubyte v22, v22, s[0:3], 0 offen
	v_mov_b32_e32 v23, s20
	s_add_i32 s22, s22, 1
	v_cmp_eq_u32_e64 s[4:5], s22, v9
	s_waitcnt vmcnt(0)
	v_and_b32_e32 v22, 0xffff, v22
	v_lshlrev_b64 v[22:23], s18, v[22:23]
	s_add_u32 s18, s18, 8
	s_addc_u32 s19, s19, 0
	v_or_b32_e32 v21, v23, v21
	s_or_b64 s[16:17], s[4:5], s[16:17]
	v_or_b32_e32 v20, v22, v20
	s_andn2_b64 exec, exec, s[16:17]
	s_cbranch_execnz .LBB1_73
; %bb.74:                               ;   in Loop: Header=BB1_30 Depth=1
	s_or_b64 exec, exec, s[16:17]
.LBB1_75:                               ;   in Loop: Header=BB1_30 Depth=1
	s_or_b64 exec, exec, s[14:15]
	s_mov_b32 s14, 0
                                        ; implicit-def: $vgpr9
.LBB1_76:                               ;   in Loop: Header=BB1_30 Depth=1
	s_or_saveexec_b64 s[4:5], s[6:7]
	v_mov_b32_e32 v24, s14
	s_xor_b64 exec, exec, s[4:5]
	s_cbranch_execz .LBB1_78
; %bb.77:                               ;   in Loop: Header=BB1_30 Depth=1
	buffer_load_dword v20, v8, s[0:3], 0 offen offset:4
	buffer_load_dword v21, v8, s[0:3], 0 offen
	v_add_u32_e32 v24, -8, v9
	v_add_u32_e32 v8, 8, v8
	s_waitcnt vmcnt(1)
	v_and_b32_e32 v9, 0xff, v20
	v_and_b32_e32 v22, 0xff00, v20
	s_waitcnt vmcnt(0)
	v_or3_b32 v21, v21, 0, 0
	v_and_b32_e32 v23, 0xff0000, v20
	v_and_b32_e32 v25, 0xff000000, v20
	v_or3_b32 v9, 0, v9, v22
	v_or3_b32 v20, v21, 0, 0
	;; [unrolled: 1-line block ×3, first 2 shown]
.LBB1_78:                               ;   in Loop: Header=BB1_30 Depth=1
	s_or_b64 exec, exec, s[4:5]
	v_cmp_gt_u32_e64 s[4:5], 8, v24
	s_and_saveexec_b64 s[6:7], s[4:5]
	s_xor_b64 s[6:7], exec, s[6:7]
	s_cbranch_execz .LBB1_84
; %bb.79:                               ;   in Loop: Header=BB1_30 Depth=1
	v_cmp_ne_u32_e64 s[4:5], 0, v24
	v_pk_mov_b32 v[22:23], 0, 0
	s_and_saveexec_b64 s[14:15], s[4:5]
	s_cbranch_execz .LBB1_83
; %bb.80:                               ;   in Loop: Header=BB1_30 Depth=1
	s_mov_b64 s[16:17], 0
	v_pk_mov_b32 v[22:23], 0, 0
	s_mov_b64 s[18:19], 0
.LBB1_81:                               ;   Parent Loop BB1_30 Depth=1
                                        ; =>  This Inner Loop Header: Depth=2
	buffer_load_ubyte v9, v8, s[0:3], 0 offen
	v_mov_b32_e32 v27, s20
	v_add_u32_e32 v24, -1, v24
	v_cmp_eq_u32_e64 s[4:5], 0, v24
	v_add_u32_e32 v8, 1, v8
	s_waitcnt vmcnt(0)
	v_and_b32_e32 v26, 0xffff, v9
	v_lshlrev_b64 v[26:27], s18, v[26:27]
	s_add_u32 s18, s18, 8
	s_addc_u32 s19, s19, 0
	v_or_b32_e32 v23, v27, v23
	s_or_b64 s[16:17], s[4:5], s[16:17]
	v_or_b32_e32 v22, v26, v22
	s_andn2_b64 exec, exec, s[16:17]
	s_cbranch_execnz .LBB1_81
; %bb.82:                               ;   in Loop: Header=BB1_30 Depth=1
	s_or_b64 exec, exec, s[16:17]
.LBB1_83:                               ;   in Loop: Header=BB1_30 Depth=1
	s_or_b64 exec, exec, s[14:15]
                                        ; implicit-def: $vgpr8
.LBB1_84:                               ;   in Loop: Header=BB1_30 Depth=1
	s_andn2_saveexec_b64 s[4:5], s[6:7]
	s_cbranch_execz .LBB1_86
; %bb.85:                               ;   in Loop: Header=BB1_30 Depth=1
	buffer_load_dword v9, v8, s[0:3], 0 offen offset:4
	buffer_load_dword v22, v8, s[0:3], 0 offen
	s_waitcnt vmcnt(1)
	v_and_b32_e32 v8, 0xff, v9
	v_and_b32_e32 v23, 0xff00, v9
	s_waitcnt vmcnt(0)
	v_or3_b32 v22, v22, 0, 0
	v_and_b32_e32 v24, 0xff0000, v9
	v_and_b32_e32 v9, 0xff000000, v9
	v_or3_b32 v8, 0, v8, v23
	v_or3_b32 v23, v8, v24, v9
	;; [unrolled: 1-line block ×3, first 2 shown]
.LBB1_86:                               ;   in Loop: Header=BB1_30 Depth=1
	s_or_b64 exec, exec, s[4:5]
	v_readfirstlane_b32 s4, v37
	v_cmp_eq_u32_e64 s[4:5], s4, v37
	v_pk_mov_b32 v[8:9], 0, 0
	s_and_saveexec_b64 s[14:15], s[4:5]
	s_cbranch_execz .LBB1_92
; %bb.87:                               ;   in Loop: Header=BB1_30 Depth=1
	global_load_dwordx2 v[26:27], v33, s[10:11] offset:24 glc
	s_waitcnt vmcnt(0)
	buffer_invl2
	buffer_wbinvl1_vol
	global_load_dwordx2 v[8:9], v33, s[10:11] offset:40
	global_load_dwordx2 v[24:25], v33, s[10:11]
	s_waitcnt vmcnt(1)
	v_and_b32_e32 v8, v8, v26
	v_and_b32_e32 v9, v9, v27
	v_mul_lo_u32 v9, v9, 24
	v_mul_hi_u32 v32, v8, 24
	v_mul_lo_u32 v8, v8, 24
	v_add_u32_e32 v9, v32, v9
	s_waitcnt vmcnt(0)
	v_add_co_u32_e64 v8, s[6:7], v24, v8
	v_addc_co_u32_e64 v9, s[6:7], v25, v9, s[6:7]
	global_load_dwordx2 v[24:25], v[8:9], off glc
	s_waitcnt vmcnt(0)
	global_atomic_cmpswap_x2 v[8:9], v33, v[24:27], s[10:11] offset:24 glc
	s_waitcnt vmcnt(0)
	buffer_invl2
	buffer_wbinvl1_vol
	v_cmp_ne_u64_e64 s[6:7], v[8:9], v[26:27]
	s_and_saveexec_b64 s[16:17], s[6:7]
	s_cbranch_execz .LBB1_91
; %bb.88:                               ;   in Loop: Header=BB1_30 Depth=1
	s_mov_b64 s[18:19], 0
.LBB1_89:                               ;   Parent Loop BB1_30 Depth=1
                                        ; =>  This Inner Loop Header: Depth=2
	s_sleep 1
	global_load_dwordx2 v[24:25], v33, s[10:11] offset:40
	global_load_dwordx2 v[34:35], v33, s[10:11]
	v_pk_mov_b32 v[26:27], v[8:9], v[8:9] op_sel:[0,1]
	s_waitcnt vmcnt(1)
	v_and_b32_e32 v8, v24, v26
	s_waitcnt vmcnt(0)
	v_mad_u64_u32 v[8:9], s[6:7], v8, 24, v[34:35]
	v_and_b32_e32 v25, v25, v27
	v_mov_b32_e32 v24, v9
	v_mad_u64_u32 v[24:25], s[6:7], v25, 24, v[24:25]
	v_mov_b32_e32 v9, v24
	global_load_dwordx2 v[24:25], v[8:9], off glc
	s_waitcnt vmcnt(0)
	global_atomic_cmpswap_x2 v[8:9], v33, v[24:27], s[10:11] offset:24 glc
	s_waitcnt vmcnt(0)
	buffer_invl2
	buffer_wbinvl1_vol
	v_cmp_eq_u64_e64 s[6:7], v[8:9], v[26:27]
	s_or_b64 s[18:19], s[6:7], s[18:19]
	s_andn2_b64 exec, exec, s[18:19]
	s_cbranch_execnz .LBB1_89
; %bb.90:                               ;   in Loop: Header=BB1_30 Depth=1
	s_or_b64 exec, exec, s[18:19]
.LBB1_91:                               ;   in Loop: Header=BB1_30 Depth=1
	s_or_b64 exec, exec, s[16:17]
.LBB1_92:                               ;   in Loop: Header=BB1_30 Depth=1
	s_or_b64 exec, exec, s[14:15]
	global_load_dwordx2 v[34:35], v33, s[10:11] offset:40
	global_load_dwordx4 v[24:27], v33, s[10:11]
	v_readfirstlane_b32 s14, v8
	v_readfirstlane_b32 s15, v9
	s_mov_b64 s[16:17], exec
	s_waitcnt vmcnt(1)
	v_readfirstlane_b32 s6, v34
	v_readfirstlane_b32 s7, v35
	s_and_b64 s[18:19], s[14:15], s[6:7]
	s_mul_i32 s6, s19, 24
	s_mul_hi_u32 s7, s18, 24
	s_mul_i32 s22, s18, 24
	s_add_i32 s6, s7, s6
	v_mov_b32_e32 v8, s6
	s_waitcnt vmcnt(0)
	v_add_co_u32_e64 v34, s[6:7], s22, v24
	v_addc_co_u32_e64 v35, s[6:7], v25, v8, s[6:7]
	s_and_saveexec_b64 s[6:7], s[4:5]
	s_cbranch_execz .LBB1_94
; %bb.93:                               ;   in Loop: Header=BB1_30 Depth=1
	v_pk_mov_b32 v[8:9], s[16:17], s[16:17] op_sel:[0,1]
	global_store_dwordx4 v[34:35], v[8:11], off offset:8
.LBB1_94:                               ;   in Loop: Header=BB1_30 Depth=1
	s_or_b64 exec, exec, s[6:7]
	s_lshl_b64 s[6:7], s[18:19], 12
	v_cndmask_b32_e32 v39, 0, v29, vcc
	v_mov_b32_e32 v9, s7
	v_add_co_u32_e32 v8, vcc, s6, v26
	v_addc_co_u32_e32 v9, vcc, v27, v9, vcc
	v_or_b32_e32 v26, 0, v1
	v_cmp_lt_u64_e32 vcc, 56, v[28:29]
	v_or_b32_e32 v27, v0, v30
	v_cndmask_b32_e32 v1, v26, v1, vcc
	v_lshl_add_u32 v26, v38, 2, 28
	v_cndmask_b32_e32 v0, v27, v0, vcc
	v_and_b32_e32 v26, 0x1e0, v26
	v_and_or_b32 v0, v0, s21, v26
	v_readfirstlane_b32 s6, v8
	v_readfirstlane_b32 s7, v9
	s_nop 4
	global_store_dwordx4 v36, v[0:3], s[6:7]
	global_store_dwordx4 v36, v[12:15], s[6:7] offset:16
	global_store_dwordx4 v36, v[16:19], s[6:7] offset:32
	;; [unrolled: 1-line block ×3, first 2 shown]
	s_and_saveexec_b64 s[6:7], s[4:5]
	s_cbranch_execz .LBB1_102
; %bb.95:                               ;   in Loop: Header=BB1_30 Depth=1
	global_load_dwordx2 v[16:17], v33, s[10:11] offset:32 glc
	global_load_dwordx2 v[0:1], v33, s[10:11] offset:40
	v_mov_b32_e32 v14, s14
	v_mov_b32_e32 v15, s15
	s_waitcnt vmcnt(0)
	v_readfirstlane_b32 s16, v0
	v_readfirstlane_b32 s17, v1
	s_and_b64 s[16:17], s[16:17], s[14:15]
	s_mul_i32 s17, s17, 24
	s_mul_hi_u32 s18, s16, 24
	s_mul_i32 s16, s16, 24
	s_add_i32 s17, s18, s17
	v_mov_b32_e32 v0, s17
	v_add_co_u32_e32 v12, vcc, s16, v24
	v_addc_co_u32_e32 v13, vcc, v25, v0, vcc
	global_store_dwordx2 v[12:13], v[16:17], off
	buffer_wbl2
	s_waitcnt vmcnt(0)
	global_atomic_cmpswap_x2 v[2:3], v33, v[14:17], s[10:11] offset:32 glc
	s_waitcnt vmcnt(0)
	v_cmp_ne_u64_e32 vcc, v[2:3], v[16:17]
	s_and_saveexec_b64 s[16:17], vcc
	s_cbranch_execz .LBB1_98
; %bb.96:                               ;   in Loop: Header=BB1_30 Depth=1
	s_mov_b64 s[18:19], 0
.LBB1_97:                               ;   Parent Loop BB1_30 Depth=1
                                        ; =>  This Inner Loop Header: Depth=2
	s_sleep 1
	global_store_dwordx2 v[12:13], v[2:3], off
	v_mov_b32_e32 v0, s14
	v_mov_b32_e32 v1, s15
	buffer_wbl2
	s_waitcnt vmcnt(0)
	global_atomic_cmpswap_x2 v[0:1], v33, v[0:3], s[10:11] offset:32 glc
	s_waitcnt vmcnt(0)
	v_cmp_eq_u64_e32 vcc, v[0:1], v[2:3]
	s_or_b64 s[18:19], vcc, s[18:19]
	v_pk_mov_b32 v[2:3], v[0:1], v[0:1] op_sel:[0,1]
	s_andn2_b64 exec, exec, s[18:19]
	s_cbranch_execnz .LBB1_97
.LBB1_98:                               ;   in Loop: Header=BB1_30 Depth=1
	s_or_b64 exec, exec, s[16:17]
	global_load_dwordx2 v[0:1], v33, s[10:11] offset:16
	s_mov_b64 s[18:19], exec
	v_mbcnt_lo_u32_b32 v2, s18, 0
	v_mbcnt_hi_u32_b32 v2, s19, v2
	v_cmp_eq_u32_e32 vcc, 0, v2
	s_and_saveexec_b64 s[16:17], vcc
	s_cbranch_execz .LBB1_100
; %bb.99:                               ;   in Loop: Header=BB1_30 Depth=1
	s_bcnt1_i32_b64 s18, s[18:19]
	v_mov_b32_e32 v32, s18
	buffer_wbl2
	s_waitcnt vmcnt(0)
	global_atomic_add_x2 v[0:1], v[32:33], off offset:8
.LBB1_100:                              ;   in Loop: Header=BB1_30 Depth=1
	s_or_b64 exec, exec, s[16:17]
	s_waitcnt vmcnt(0)
	global_load_dwordx2 v[2:3], v[0:1], off offset:16
	s_waitcnt vmcnt(0)
	v_cmp_eq_u64_e32 vcc, 0, v[2:3]
	s_cbranch_vccnz .LBB1_102
; %bb.101:                              ;   in Loop: Header=BB1_30 Depth=1
	global_load_dword v32, v[0:1], off offset:24
	s_waitcnt vmcnt(0)
	v_and_b32_e32 v0, 0xffffff, v32
	v_readfirstlane_b32 m0, v0
	buffer_wbl2
	global_store_dwordx2 v[2:3], v[32:33], off
	s_sendmsg sendmsg(MSG_INTERRUPT)
.LBB1_102:                              ;   in Loop: Header=BB1_30 Depth=1
	s_or_b64 exec, exec, s[6:7]
	v_add_co_u32_e32 v0, vcc, v8, v36
	v_addc_co_u32_e32 v1, vcc, 0, v9, vcc
	s_branch .LBB1_106
.LBB1_103:                              ;   in Loop: Header=BB1_106 Depth=2
	s_or_b64 exec, exec, s[6:7]
	v_readfirstlane_b32 s6, v2
	s_cmp_eq_u32 s6, 0
	s_cbranch_scc1 .LBB1_105
; %bb.104:                              ;   in Loop: Header=BB1_106 Depth=2
	s_sleep 1
	s_cbranch_execnz .LBB1_106
	s_branch .LBB1_108
.LBB1_105:                              ;   in Loop: Header=BB1_30 Depth=1
	s_branch .LBB1_108
.LBB1_106:                              ;   Parent Loop BB1_30 Depth=1
                                        ; =>  This Inner Loop Header: Depth=2
	v_mov_b32_e32 v2, 1
	s_and_saveexec_b64 s[6:7], s[4:5]
	s_cbranch_execz .LBB1_103
; %bb.107:                              ;   in Loop: Header=BB1_106 Depth=2
	global_load_dword v2, v[34:35], off offset:20 glc
	s_waitcnt vmcnt(0)
	buffer_invl2
	buffer_wbinvl1_vol
	v_and_b32_e32 v2, 1, v2
	s_branch .LBB1_103
.LBB1_108:                              ;   in Loop: Header=BB1_30 Depth=1
	global_load_dwordx4 v[0:3], v[0:1], off
	s_and_saveexec_b64 s[6:7], s[4:5]
	s_cbranch_execz .LBB1_29
; %bb.109:                              ;   in Loop: Header=BB1_30 Depth=1
	global_load_dwordx2 v[2:3], v33, s[10:11] offset:40
	global_load_dwordx2 v[8:9], v33, s[10:11] offset:24 glc
	global_load_dwordx2 v[16:17], v33, s[10:11]
	v_mov_b32_e32 v13, s15
	s_waitcnt vmcnt(2)
	v_add_co_u32_e32 v15, vcc, 1, v2
	v_addc_co_u32_e32 v18, vcc, 0, v3, vcc
	v_add_co_u32_e32 v12, vcc, s14, v15
	v_addc_co_u32_e32 v13, vcc, v18, v13, vcc
	v_cmp_eq_u64_e32 vcc, 0, v[12:13]
	v_cndmask_b32_e32 v13, v13, v18, vcc
	v_cndmask_b32_e32 v12, v12, v15, vcc
	v_and_b32_e32 v3, v13, v3
	v_and_b32_e32 v2, v12, v2
	v_mul_lo_u32 v3, v3, 24
	v_mul_hi_u32 v15, v2, 24
	v_mul_lo_u32 v2, v2, 24
	v_add_u32_e32 v3, v15, v3
	s_waitcnt vmcnt(0)
	v_add_co_u32_e32 v2, vcc, v16, v2
	v_addc_co_u32_e32 v3, vcc, v17, v3, vcc
	v_mov_b32_e32 v14, v8
	global_store_dwordx2 v[2:3], v[8:9], off
	v_mov_b32_e32 v15, v9
	buffer_wbl2
	s_waitcnt vmcnt(0)
	global_atomic_cmpswap_x2 v[14:15], v33, v[12:15], s[10:11] offset:24 glc
	s_waitcnt vmcnt(0)
	v_cmp_ne_u64_e32 vcc, v[14:15], v[8:9]
	s_and_b64 exec, exec, vcc
	s_cbranch_execz .LBB1_29
; %bb.110:                              ;   in Loop: Header=BB1_30 Depth=1
	s_mov_b64 s[4:5], 0
.LBB1_111:                              ;   Parent Loop BB1_30 Depth=1
                                        ; =>  This Inner Loop Header: Depth=2
	s_sleep 1
	global_store_dwordx2 v[2:3], v[14:15], off
	buffer_wbl2
	s_waitcnt vmcnt(0)
	global_atomic_cmpswap_x2 v[8:9], v33, v[12:15], s[10:11] offset:24 glc
	s_waitcnt vmcnt(0)
	v_cmp_eq_u64_e32 vcc, v[8:9], v[14:15]
	s_or_b64 s[4:5], vcc, s[4:5]
	v_pk_mov_b32 v[14:15], v[8:9], v[8:9] op_sel:[0,1]
	s_andn2_b64 exec, exec, s[4:5]
	s_cbranch_execnz .LBB1_111
	s_branch .LBB1_29
.LBB1_112:
                                        ; implicit-def: $vgpr0_vgpr1
	s_cbranch_execnz .LBB1_114
	s_branch .LBB1_140
.LBB1_113:
	s_or_b64 exec, exec, s[12:13]
	s_branch .LBB1_140
.LBB1_114:
	v_readfirstlane_b32 s4, v37
	v_cmp_eq_u32_e64 s[4:5], s4, v37
	v_pk_mov_b32 v[10:11], 0, 0
	s_and_saveexec_b64 s[6:7], s[4:5]
	s_cbranch_execz .LBB1_120
; %bb.115:
	s_waitcnt vmcnt(0)
	v_mov_b32_e32 v0, 0
	global_load_dwordx2 v[12:13], v0, s[10:11] offset:24 glc
	s_waitcnt vmcnt(0)
	buffer_invl2
	buffer_wbinvl1_vol
	global_load_dwordx2 v[2:3], v0, s[10:11] offset:40
	global_load_dwordx2 v[8:9], v0, s[10:11]
	s_waitcnt vmcnt(1)
	v_and_b32_e32 v1, v2, v12
	v_and_b32_e32 v2, v3, v13
	v_mul_lo_u32 v2, v2, 24
	v_mul_hi_u32 v3, v1, 24
	v_mul_lo_u32 v1, v1, 24
	v_add_u32_e32 v3, v3, v2
	s_waitcnt vmcnt(0)
	v_add_co_u32_e32 v2, vcc, v8, v1
	v_addc_co_u32_e32 v3, vcc, v9, v3, vcc
	global_load_dwordx2 v[10:11], v[2:3], off glc
	s_waitcnt vmcnt(0)
	global_atomic_cmpswap_x2 v[10:11], v0, v[10:13], s[10:11] offset:24 glc
	s_waitcnt vmcnt(0)
	buffer_invl2
	buffer_wbinvl1_vol
	v_cmp_ne_u64_e32 vcc, v[10:11], v[12:13]
	s_and_saveexec_b64 s[12:13], vcc
	s_cbranch_execz .LBB1_119
; %bb.116:
	s_mov_b64 s[14:15], 0
.LBB1_117:                              ; =>This Inner Loop Header: Depth=1
	s_sleep 1
	global_load_dwordx2 v[2:3], v0, s[10:11] offset:40
	global_load_dwordx2 v[8:9], v0, s[10:11]
	v_pk_mov_b32 v[12:13], v[10:11], v[10:11] op_sel:[0,1]
	s_waitcnt vmcnt(1)
	v_and_b32_e32 v2, v2, v12
	v_and_b32_e32 v1, v3, v13
	s_waitcnt vmcnt(0)
	v_mad_u64_u32 v[2:3], s[16:17], v2, 24, v[8:9]
	v_mov_b32_e32 v8, v3
	v_mad_u64_u32 v[8:9], s[16:17], v1, 24, v[8:9]
	v_mov_b32_e32 v3, v8
	global_load_dwordx2 v[10:11], v[2:3], off glc
	s_waitcnt vmcnt(0)
	global_atomic_cmpswap_x2 v[10:11], v0, v[10:13], s[10:11] offset:24 glc
	s_waitcnt vmcnt(0)
	buffer_invl2
	buffer_wbinvl1_vol
	v_cmp_eq_u64_e32 vcc, v[10:11], v[12:13]
	s_or_b64 s[14:15], vcc, s[14:15]
	s_andn2_b64 exec, exec, s[14:15]
	s_cbranch_execnz .LBB1_117
; %bb.118:
	s_or_b64 exec, exec, s[14:15]
.LBB1_119:
	s_or_b64 exec, exec, s[12:13]
.LBB1_120:
	s_or_b64 exec, exec, s[6:7]
	v_mov_b32_e32 v8, 0
	global_load_dwordx2 v[12:13], v8, s[10:11] offset:40
	global_load_dwordx4 v[0:3], v8, s[10:11]
	v_readfirstlane_b32 s6, v10
	v_readfirstlane_b32 s7, v11
	s_mov_b64 s[12:13], exec
	s_waitcnt vmcnt(1)
	v_readfirstlane_b32 s14, v12
	v_readfirstlane_b32 s15, v13
	s_and_b64 s[14:15], s[6:7], s[14:15]
	s_mul_i32 s16, s15, 24
	s_mul_hi_u32 s17, s14, 24
	s_mul_i32 s18, s14, 24
	s_add_i32 s16, s17, s16
	v_mov_b32_e32 v9, s16
	s_waitcnt vmcnt(0)
	v_add_co_u32_e32 v10, vcc, s18, v0
	v_addc_co_u32_e32 v11, vcc, v1, v9, vcc
	s_and_saveexec_b64 s[16:17], s[4:5]
	s_cbranch_execz .LBB1_122
; %bb.121:
	v_pk_mov_b32 v[12:13], s[12:13], s[12:13] op_sel:[0,1]
	v_mov_b32_e32 v14, 2
	v_mov_b32_e32 v15, 1
	global_store_dwordx4 v[10:11], v[12:15], off offset:8
.LBB1_122:
	s_or_b64 exec, exec, s[16:17]
	s_lshl_b64 s[12:13], s[14:15], 12
	v_mov_b32_e32 v9, s13
	v_add_co_u32_e32 v2, vcc, s12, v2
	s_movk_i32 s12, 0xff1f
	v_addc_co_u32_e32 v3, vcc, v3, v9, vcc
	v_and_or_b32 v6, v6, s12, 32
	s_mov_b32 s12, 0
	v_mov_b32_e32 v9, v8
	v_readfirstlane_b32 s16, v2
	v_readfirstlane_b32 s17, v3
	s_mov_b32 s13, s12
	v_add_co_u32_e32 v12, vcc, v2, v36
	s_mov_b32 s14, s12
	s_mov_b32 s15, s12
	s_nop 0
	global_store_dwordx4 v36, v[6:9], s[16:17]
	v_addc_co_u32_e32 v13, vcc, 0, v3, vcc
	v_pk_mov_b32 v[6:7], s[12:13], s[12:13] op_sel:[0,1]
	v_pk_mov_b32 v[8:9], s[14:15], s[14:15] op_sel:[0,1]
	global_store_dwordx4 v36, v[6:9], s[16:17] offset:16
	global_store_dwordx4 v36, v[6:9], s[16:17] offset:32
	;; [unrolled: 1-line block ×3, first 2 shown]
	s_and_saveexec_b64 s[12:13], s[4:5]
	s_cbranch_execz .LBB1_130
; %bb.123:
	v_mov_b32_e32 v8, 0
	global_load_dwordx2 v[16:17], v8, s[10:11] offset:32 glc
	global_load_dwordx2 v[2:3], v8, s[10:11] offset:40
	v_mov_b32_e32 v14, s6
	v_mov_b32_e32 v15, s7
	s_waitcnt vmcnt(0)
	v_readfirstlane_b32 s14, v2
	v_readfirstlane_b32 s15, v3
	s_and_b64 s[14:15], s[14:15], s[6:7]
	s_mul_i32 s15, s15, 24
	s_mul_hi_u32 s16, s14, 24
	s_mul_i32 s14, s14, 24
	s_add_i32 s15, s16, s15
	v_mov_b32_e32 v2, s15
	v_add_co_u32_e32 v6, vcc, s14, v0
	v_addc_co_u32_e32 v7, vcc, v1, v2, vcc
	global_store_dwordx2 v[6:7], v[16:17], off
	buffer_wbl2
	s_waitcnt vmcnt(0)
	global_atomic_cmpswap_x2 v[2:3], v8, v[14:17], s[10:11] offset:32 glc
	s_waitcnt vmcnt(0)
	v_cmp_ne_u64_e32 vcc, v[2:3], v[16:17]
	s_and_saveexec_b64 s[14:15], vcc
	s_cbranch_execz .LBB1_126
; %bb.124:
	s_mov_b64 s[16:17], 0
.LBB1_125:                              ; =>This Inner Loop Header: Depth=1
	s_sleep 1
	global_store_dwordx2 v[6:7], v[2:3], off
	v_mov_b32_e32 v0, s6
	v_mov_b32_e32 v1, s7
	buffer_wbl2
	s_waitcnt vmcnt(0)
	global_atomic_cmpswap_x2 v[0:1], v8, v[0:3], s[10:11] offset:32 glc
	s_waitcnt vmcnt(0)
	v_cmp_eq_u64_e32 vcc, v[0:1], v[2:3]
	s_or_b64 s[16:17], vcc, s[16:17]
	v_pk_mov_b32 v[2:3], v[0:1], v[0:1] op_sel:[0,1]
	s_andn2_b64 exec, exec, s[16:17]
	s_cbranch_execnz .LBB1_125
.LBB1_126:
	s_or_b64 exec, exec, s[14:15]
	v_mov_b32_e32 v3, 0
	global_load_dwordx2 v[0:1], v3, s[10:11] offset:16
	s_mov_b64 s[14:15], exec
	v_mbcnt_lo_u32_b32 v2, s14, 0
	v_mbcnt_hi_u32_b32 v2, s15, v2
	v_cmp_eq_u32_e32 vcc, 0, v2
	s_and_saveexec_b64 s[16:17], vcc
	s_cbranch_execz .LBB1_128
; %bb.127:
	s_bcnt1_i32_b64 s14, s[14:15]
	v_mov_b32_e32 v2, s14
	buffer_wbl2
	s_waitcnt vmcnt(0)
	global_atomic_add_x2 v[0:1], v[2:3], off offset:8
.LBB1_128:
	s_or_b64 exec, exec, s[16:17]
	s_waitcnt vmcnt(0)
	global_load_dwordx2 v[2:3], v[0:1], off offset:16
	s_waitcnt vmcnt(0)
	v_cmp_eq_u64_e32 vcc, 0, v[2:3]
	s_cbranch_vccnz .LBB1_130
; %bb.129:
	global_load_dword v0, v[0:1], off offset:24
	v_mov_b32_e32 v1, 0
	buffer_wbl2
	s_waitcnt vmcnt(0)
	global_store_dwordx2 v[2:3], v[0:1], off
	v_and_b32_e32 v0, 0xffffff, v0
	v_readfirstlane_b32 m0, v0
	s_sendmsg sendmsg(MSG_INTERRUPT)
.LBB1_130:
	s_or_b64 exec, exec, s[12:13]
	s_branch .LBB1_134
.LBB1_131:                              ;   in Loop: Header=BB1_134 Depth=1
	s_or_b64 exec, exec, s[12:13]
	v_readfirstlane_b32 s12, v0
	s_cmp_eq_u32 s12, 0
	s_cbranch_scc1 .LBB1_133
; %bb.132:                              ;   in Loop: Header=BB1_134 Depth=1
	s_sleep 1
	s_cbranch_execnz .LBB1_134
	s_branch .LBB1_136
.LBB1_133:
	s_branch .LBB1_136
.LBB1_134:                              ; =>This Inner Loop Header: Depth=1
	v_mov_b32_e32 v0, 1
	s_and_saveexec_b64 s[12:13], s[4:5]
	s_cbranch_execz .LBB1_131
; %bb.135:                              ;   in Loop: Header=BB1_134 Depth=1
	global_load_dword v0, v[10:11], off offset:20 glc
	s_waitcnt vmcnt(0)
	buffer_invl2
	buffer_wbinvl1_vol
	v_and_b32_e32 v0, 1, v0
	s_branch .LBB1_131
.LBB1_136:
	global_load_dwordx2 v[0:1], v[12:13], off
	s_and_saveexec_b64 s[12:13], s[4:5]
	s_cbranch_execz .LBB1_139
; %bb.137:
	v_mov_b32_e32 v10, 0
	global_load_dwordx2 v[2:3], v10, s[10:11] offset:40
	global_load_dwordx2 v[12:13], v10, s[10:11] offset:24 glc
	global_load_dwordx2 v[14:15], v10, s[10:11]
	v_mov_b32_e32 v7, s7
	s_mov_b64 s[4:5], 0
	s_waitcnt vmcnt(2)
	v_add_co_u32_e32 v9, vcc, 1, v2
	v_addc_co_u32_e32 v11, vcc, 0, v3, vcc
	v_add_co_u32_e32 v6, vcc, s6, v9
	v_addc_co_u32_e32 v7, vcc, v11, v7, vcc
	v_cmp_eq_u64_e32 vcc, 0, v[6:7]
	v_cndmask_b32_e32 v7, v7, v11, vcc
	v_cndmask_b32_e32 v6, v6, v9, vcc
	v_and_b32_e32 v3, v7, v3
	v_and_b32_e32 v2, v6, v2
	v_mul_lo_u32 v3, v3, 24
	v_mul_hi_u32 v9, v2, 24
	v_mul_lo_u32 v2, v2, 24
	v_add_u32_e32 v3, v9, v3
	s_waitcnt vmcnt(0)
	v_add_co_u32_e32 v2, vcc, v14, v2
	v_addc_co_u32_e32 v3, vcc, v15, v3, vcc
	v_mov_b32_e32 v8, v12
	global_store_dwordx2 v[2:3], v[12:13], off
	v_mov_b32_e32 v9, v13
	buffer_wbl2
	s_waitcnt vmcnt(0)
	global_atomic_cmpswap_x2 v[8:9], v10, v[6:9], s[10:11] offset:24 glc
	s_waitcnt vmcnt(0)
	v_cmp_ne_u64_e32 vcc, v[8:9], v[12:13]
	s_and_b64 exec, exec, vcc
	s_cbranch_execz .LBB1_139
.LBB1_138:                              ; =>This Inner Loop Header: Depth=1
	s_sleep 1
	global_store_dwordx2 v[2:3], v[8:9], off
	buffer_wbl2
	s_waitcnt vmcnt(0)
	global_atomic_cmpswap_x2 v[12:13], v10, v[6:9], s[10:11] offset:24 glc
	s_waitcnt vmcnt(0)
	v_cmp_eq_u64_e32 vcc, v[12:13], v[8:9]
	s_or_b64 s[4:5], vcc, s[4:5]
	v_pk_mov_b32 v[8:9], v[12:13], v[12:13] op_sel:[0,1]
	s_andn2_b64 exec, exec, s[4:5]
	s_cbranch_execnz .LBB1_138
.LBB1_139:
	s_or_b64 exec, exec, s[12:13]
.LBB1_140:
	s_getpc_b64 s[6:7]
	s_add_u32 s6, s6, .str.2@rel32@lo+4
	s_addc_u32 s7, s7, .str.2@rel32@hi+12
	s_cmp_lg_u64 s[6:7], 0
	s_cbranch_scc0 .LBB1_224
; %bb.141:
	s_getpc_b64 s[4:5]
	s_add_u32 s4, s4, .str.2@rel32@lo+80
	s_addc_u32 s5, s5, .str.2@rel32@hi+88
	s_sub_i32 s12, s4, s6
	s_ashr_i32 s13, s12, 31
	s_waitcnt vmcnt(0)
	v_and_b32_e32 v2, 2, v0
	v_mov_b32_e32 v33, 0
	v_and_b32_e32 v6, -3, v0
	v_mov_b32_e32 v7, v1
	v_mov_b32_e32 v10, 2
	;; [unrolled: 1-line block ×3, first 2 shown]
	s_branch .LBB1_143
.LBB1_142:                              ;   in Loop: Header=BB1_143 Depth=1
	s_or_b64 exec, exec, s[18:19]
	s_sub_u32 s12, s12, s14
	s_subb_u32 s13, s13, s15
	s_add_u32 s6, s6, s14
	s_addc_u32 s7, s7, s15
	s_cmp_lg_u64 s[12:13], 0
	s_cbranch_scc0 .LBB1_225
.LBB1_143:                              ; =>This Loop Header: Depth=1
                                        ;     Child Loop BB1_146 Depth 2
                                        ;     Child Loop BB1_153 Depth 2
	;; [unrolled: 1-line block ×11, first 2 shown]
	v_cmp_lt_u64_e64 s[4:5], s[12:13], 56
	s_and_b64 s[4:5], s[4:5], exec
	v_cmp_gt_u64_e64 s[4:5], s[12:13], 7
	s_cselect_b32 s15, s13, 0
	s_cselect_b32 s14, s12, 56
	s_and_b64 vcc, exec, s[4:5]
	s_cbranch_vccnz .LBB1_148
; %bb.144:                              ;   in Loop: Header=BB1_143 Depth=1
	s_mov_b64 s[4:5], 0
	s_cmp_eq_u64 s[12:13], 0
	v_pk_mov_b32 v[14:15], 0, 0
	s_cbranch_scc1 .LBB1_147
; %bb.145:                              ;   in Loop: Header=BB1_143 Depth=1
	s_lshl_b64 s[16:17], s[14:15], 3
	s_mov_b64 s[18:19], 0
	v_pk_mov_b32 v[14:15], 0, 0
	s_mov_b64 s[20:21], s[6:7]
.LBB1_146:                              ;   Parent Loop BB1_143 Depth=1
                                        ; =>  This Inner Loop Header: Depth=2
	global_load_ubyte v3, v33, s[20:21]
	s_waitcnt vmcnt(0)
	v_and_b32_e32 v32, 0xffff, v3
	v_lshlrev_b64 v[8:9], s18, v[32:33]
	s_add_u32 s18, s18, 8
	s_addc_u32 s19, s19, 0
	s_add_u32 s20, s20, 1
	s_addc_u32 s21, s21, 0
	v_or_b32_e32 v14, v8, v14
	s_cmp_lg_u32 s16, s18
	v_or_b32_e32 v15, v9, v15
	s_cbranch_scc1 .LBB1_146
.LBB1_147:                              ;   in Loop: Header=BB1_143 Depth=1
	s_mov_b32 s20, 0
	s_andn2_b64 vcc, exec, s[4:5]
	s_mov_b64 s[4:5], s[6:7]
	s_cbranch_vccz .LBB1_149
	s_branch .LBB1_150
.LBB1_148:                              ;   in Loop: Header=BB1_143 Depth=1
                                        ; implicit-def: $vgpr14_vgpr15
                                        ; implicit-def: $sgpr20
	s_mov_b64 s[4:5], s[6:7]
.LBB1_149:                              ;   in Loop: Header=BB1_143 Depth=1
	global_load_dwordx2 v[14:15], v33, s[6:7]
	s_add_i32 s20, s14, -8
	s_add_u32 s4, s6, 8
	s_addc_u32 s5, s7, 0
.LBB1_150:                              ;   in Loop: Header=BB1_143 Depth=1
	s_cmp_gt_u32 s20, 7
	s_cbranch_scc1 .LBB1_154
; %bb.151:                              ;   in Loop: Header=BB1_143 Depth=1
	s_cmp_eq_u32 s20, 0
	s_cbranch_scc1 .LBB1_155
; %bb.152:                              ;   in Loop: Header=BB1_143 Depth=1
	s_mov_b64 s[16:17], 0
	v_pk_mov_b32 v[16:17], 0, 0
	s_mov_b64 s[18:19], 0
.LBB1_153:                              ;   Parent Loop BB1_143 Depth=1
                                        ; =>  This Inner Loop Header: Depth=2
	s_add_u32 s22, s4, s18
	s_addc_u32 s23, s5, s19
	global_load_ubyte v3, v33, s[22:23]
	s_add_u32 s18, s18, 1
	s_addc_u32 s19, s19, 0
	s_waitcnt vmcnt(0)
	v_and_b32_e32 v32, 0xffff, v3
	v_lshlrev_b64 v[8:9], s16, v[32:33]
	s_add_u32 s16, s16, 8
	s_addc_u32 s17, s17, 0
	v_or_b32_e32 v16, v8, v16
	s_cmp_lg_u32 s20, s18
	v_or_b32_e32 v17, v9, v17
	s_cbranch_scc1 .LBB1_153
	s_branch .LBB1_156
.LBB1_154:                              ;   in Loop: Header=BB1_143 Depth=1
                                        ; implicit-def: $vgpr16_vgpr17
                                        ; implicit-def: $sgpr21
	s_branch .LBB1_157
.LBB1_155:                              ;   in Loop: Header=BB1_143 Depth=1
	v_pk_mov_b32 v[16:17], 0, 0
.LBB1_156:                              ;   in Loop: Header=BB1_143 Depth=1
	s_mov_b32 s21, 0
	s_cbranch_execnz .LBB1_158
.LBB1_157:                              ;   in Loop: Header=BB1_143 Depth=1
	global_load_dwordx2 v[16:17], v33, s[4:5]
	s_add_i32 s21, s20, -8
	s_add_u32 s4, s4, 8
	s_addc_u32 s5, s5, 0
.LBB1_158:                              ;   in Loop: Header=BB1_143 Depth=1
	s_cmp_gt_u32 s21, 7
	s_cbranch_scc1 .LBB1_162
; %bb.159:                              ;   in Loop: Header=BB1_143 Depth=1
	s_cmp_eq_u32 s21, 0
	s_cbranch_scc1 .LBB1_163
; %bb.160:                              ;   in Loop: Header=BB1_143 Depth=1
	s_mov_b64 s[16:17], 0
	v_pk_mov_b32 v[18:19], 0, 0
	s_mov_b64 s[18:19], 0
.LBB1_161:                              ;   Parent Loop BB1_143 Depth=1
                                        ; =>  This Inner Loop Header: Depth=2
	s_add_u32 s22, s4, s18
	s_addc_u32 s23, s5, s19
	global_load_ubyte v3, v33, s[22:23]
	s_add_u32 s18, s18, 1
	s_addc_u32 s19, s19, 0
	s_waitcnt vmcnt(0)
	v_and_b32_e32 v32, 0xffff, v3
	v_lshlrev_b64 v[8:9], s16, v[32:33]
	s_add_u32 s16, s16, 8
	s_addc_u32 s17, s17, 0
	v_or_b32_e32 v18, v8, v18
	s_cmp_lg_u32 s21, s18
	v_or_b32_e32 v19, v9, v19
	s_cbranch_scc1 .LBB1_161
	s_branch .LBB1_164
.LBB1_162:                              ;   in Loop: Header=BB1_143 Depth=1
                                        ; implicit-def: $sgpr20
	s_branch .LBB1_165
.LBB1_163:                              ;   in Loop: Header=BB1_143 Depth=1
	v_pk_mov_b32 v[18:19], 0, 0
.LBB1_164:                              ;   in Loop: Header=BB1_143 Depth=1
	s_mov_b32 s20, 0
	s_cbranch_execnz .LBB1_166
.LBB1_165:                              ;   in Loop: Header=BB1_143 Depth=1
	global_load_dwordx2 v[18:19], v33, s[4:5]
	s_add_i32 s20, s21, -8
	s_add_u32 s4, s4, 8
	s_addc_u32 s5, s5, 0
.LBB1_166:                              ;   in Loop: Header=BB1_143 Depth=1
	s_cmp_gt_u32 s20, 7
	s_cbranch_scc1 .LBB1_170
; %bb.167:                              ;   in Loop: Header=BB1_143 Depth=1
	s_cmp_eq_u32 s20, 0
	s_cbranch_scc1 .LBB1_171
; %bb.168:                              ;   in Loop: Header=BB1_143 Depth=1
	s_mov_b64 s[16:17], 0
	v_pk_mov_b32 v[20:21], 0, 0
	s_mov_b64 s[18:19], 0
.LBB1_169:                              ;   Parent Loop BB1_143 Depth=1
                                        ; =>  This Inner Loop Header: Depth=2
	s_add_u32 s22, s4, s18
	s_addc_u32 s23, s5, s19
	global_load_ubyte v3, v33, s[22:23]
	s_add_u32 s18, s18, 1
	s_addc_u32 s19, s19, 0
	s_waitcnt vmcnt(0)
	v_and_b32_e32 v32, 0xffff, v3
	v_lshlrev_b64 v[8:9], s16, v[32:33]
	s_add_u32 s16, s16, 8
	s_addc_u32 s17, s17, 0
	v_or_b32_e32 v20, v8, v20
	s_cmp_lg_u32 s20, s18
	v_or_b32_e32 v21, v9, v21
	s_cbranch_scc1 .LBB1_169
	s_branch .LBB1_172
.LBB1_170:                              ;   in Loop: Header=BB1_143 Depth=1
                                        ; implicit-def: $vgpr20_vgpr21
                                        ; implicit-def: $sgpr21
	s_branch .LBB1_173
.LBB1_171:                              ;   in Loop: Header=BB1_143 Depth=1
	v_pk_mov_b32 v[20:21], 0, 0
.LBB1_172:                              ;   in Loop: Header=BB1_143 Depth=1
	s_mov_b32 s21, 0
	s_cbranch_execnz .LBB1_174
.LBB1_173:                              ;   in Loop: Header=BB1_143 Depth=1
	global_load_dwordx2 v[20:21], v33, s[4:5]
	s_add_i32 s21, s20, -8
	s_add_u32 s4, s4, 8
	s_addc_u32 s5, s5, 0
.LBB1_174:                              ;   in Loop: Header=BB1_143 Depth=1
	s_cmp_gt_u32 s21, 7
	s_cbranch_scc1 .LBB1_178
; %bb.175:                              ;   in Loop: Header=BB1_143 Depth=1
	s_cmp_eq_u32 s21, 0
	s_cbranch_scc1 .LBB1_179
; %bb.176:                              ;   in Loop: Header=BB1_143 Depth=1
	s_mov_b64 s[16:17], 0
	v_pk_mov_b32 v[22:23], 0, 0
	s_mov_b64 s[18:19], 0
.LBB1_177:                              ;   Parent Loop BB1_143 Depth=1
                                        ; =>  This Inner Loop Header: Depth=2
	s_add_u32 s22, s4, s18
	s_addc_u32 s23, s5, s19
	global_load_ubyte v3, v33, s[22:23]
	s_add_u32 s18, s18, 1
	s_addc_u32 s19, s19, 0
	s_waitcnt vmcnt(0)
	v_and_b32_e32 v32, 0xffff, v3
	v_lshlrev_b64 v[8:9], s16, v[32:33]
	s_add_u32 s16, s16, 8
	s_addc_u32 s17, s17, 0
	v_or_b32_e32 v22, v8, v22
	s_cmp_lg_u32 s21, s18
	v_or_b32_e32 v23, v9, v23
	s_cbranch_scc1 .LBB1_177
	s_branch .LBB1_180
.LBB1_178:                              ;   in Loop: Header=BB1_143 Depth=1
                                        ; implicit-def: $sgpr20
	s_branch .LBB1_181
.LBB1_179:                              ;   in Loop: Header=BB1_143 Depth=1
	v_pk_mov_b32 v[22:23], 0, 0
.LBB1_180:                              ;   in Loop: Header=BB1_143 Depth=1
	s_mov_b32 s20, 0
	s_cbranch_execnz .LBB1_182
.LBB1_181:                              ;   in Loop: Header=BB1_143 Depth=1
	global_load_dwordx2 v[22:23], v33, s[4:5]
	s_add_i32 s20, s21, -8
	s_add_u32 s4, s4, 8
	s_addc_u32 s5, s5, 0
.LBB1_182:                              ;   in Loop: Header=BB1_143 Depth=1
	s_cmp_gt_u32 s20, 7
	s_cbranch_scc1 .LBB1_186
; %bb.183:                              ;   in Loop: Header=BB1_143 Depth=1
	s_cmp_eq_u32 s20, 0
	s_cbranch_scc1 .LBB1_187
; %bb.184:                              ;   in Loop: Header=BB1_143 Depth=1
	s_mov_b64 s[16:17], 0
	v_pk_mov_b32 v[24:25], 0, 0
	s_mov_b64 s[18:19], 0
.LBB1_185:                              ;   Parent Loop BB1_143 Depth=1
                                        ; =>  This Inner Loop Header: Depth=2
	s_add_u32 s22, s4, s18
	s_addc_u32 s23, s5, s19
	global_load_ubyte v3, v33, s[22:23]
	s_add_u32 s18, s18, 1
	s_addc_u32 s19, s19, 0
	s_waitcnt vmcnt(0)
	v_and_b32_e32 v32, 0xffff, v3
	v_lshlrev_b64 v[8:9], s16, v[32:33]
	s_add_u32 s16, s16, 8
	s_addc_u32 s17, s17, 0
	v_or_b32_e32 v24, v8, v24
	s_cmp_lg_u32 s20, s18
	v_or_b32_e32 v25, v9, v25
	s_cbranch_scc1 .LBB1_185
	s_branch .LBB1_188
.LBB1_186:                              ;   in Loop: Header=BB1_143 Depth=1
                                        ; implicit-def: $vgpr24_vgpr25
                                        ; implicit-def: $sgpr21
	s_branch .LBB1_189
.LBB1_187:                              ;   in Loop: Header=BB1_143 Depth=1
	v_pk_mov_b32 v[24:25], 0, 0
.LBB1_188:                              ;   in Loop: Header=BB1_143 Depth=1
	s_mov_b32 s21, 0
	s_cbranch_execnz .LBB1_190
.LBB1_189:                              ;   in Loop: Header=BB1_143 Depth=1
	global_load_dwordx2 v[24:25], v33, s[4:5]
	s_add_i32 s21, s20, -8
	s_add_u32 s4, s4, 8
	s_addc_u32 s5, s5, 0
.LBB1_190:                              ;   in Loop: Header=BB1_143 Depth=1
	s_cmp_gt_u32 s21, 7
	s_cbranch_scc1 .LBB1_194
; %bb.191:                              ;   in Loop: Header=BB1_143 Depth=1
	s_cmp_eq_u32 s21, 0
	s_cbranch_scc1 .LBB1_195
; %bb.192:                              ;   in Loop: Header=BB1_143 Depth=1
	s_mov_b64 s[16:17], 0
	v_pk_mov_b32 v[26:27], 0, 0
	s_mov_b64 s[18:19], s[4:5]
.LBB1_193:                              ;   Parent Loop BB1_143 Depth=1
                                        ; =>  This Inner Loop Header: Depth=2
	global_load_ubyte v3, v33, s[18:19]
	s_add_i32 s21, s21, -1
	s_waitcnt vmcnt(0)
	v_and_b32_e32 v32, 0xffff, v3
	v_lshlrev_b64 v[8:9], s16, v[32:33]
	s_add_u32 s16, s16, 8
	s_addc_u32 s17, s17, 0
	s_add_u32 s18, s18, 1
	s_addc_u32 s19, s19, 0
	v_or_b32_e32 v26, v8, v26
	s_cmp_lg_u32 s21, 0
	v_or_b32_e32 v27, v9, v27
	s_cbranch_scc1 .LBB1_193
	s_branch .LBB1_196
.LBB1_194:                              ;   in Loop: Header=BB1_143 Depth=1
	s_branch .LBB1_197
.LBB1_195:                              ;   in Loop: Header=BB1_143 Depth=1
	v_pk_mov_b32 v[26:27], 0, 0
.LBB1_196:                              ;   in Loop: Header=BB1_143 Depth=1
	s_cbranch_execnz .LBB1_198
.LBB1_197:                              ;   in Loop: Header=BB1_143 Depth=1
	global_load_dwordx2 v[26:27], v33, s[4:5]
.LBB1_198:                              ;   in Loop: Header=BB1_143 Depth=1
	v_readfirstlane_b32 s4, v37
	v_cmp_eq_u32_e64 s[4:5], s4, v37
	s_waitcnt vmcnt(0)
	v_pk_mov_b32 v[8:9], 0, 0
	s_and_saveexec_b64 s[16:17], s[4:5]
	s_cbranch_execz .LBB1_204
; %bb.199:                              ;   in Loop: Header=BB1_143 Depth=1
	global_load_dwordx2 v[30:31], v33, s[10:11] offset:24 glc
	s_waitcnt vmcnt(0)
	buffer_invl2
	buffer_wbinvl1_vol
	global_load_dwordx2 v[8:9], v33, s[10:11] offset:40
	global_load_dwordx2 v[12:13], v33, s[10:11]
	s_waitcnt vmcnt(1)
	v_and_b32_e32 v3, v8, v30
	v_and_b32_e32 v8, v9, v31
	v_mul_lo_u32 v8, v8, 24
	v_mul_hi_u32 v9, v3, 24
	v_mul_lo_u32 v3, v3, 24
	v_add_u32_e32 v9, v9, v8
	s_waitcnt vmcnt(0)
	v_add_co_u32_e32 v8, vcc, v12, v3
	v_addc_co_u32_e32 v9, vcc, v13, v9, vcc
	global_load_dwordx2 v[28:29], v[8:9], off glc
	s_waitcnt vmcnt(0)
	global_atomic_cmpswap_x2 v[8:9], v33, v[28:31], s[10:11] offset:24 glc
	s_waitcnt vmcnt(0)
	buffer_invl2
	buffer_wbinvl1_vol
	v_cmp_ne_u64_e32 vcc, v[8:9], v[30:31]
	s_and_saveexec_b64 s[18:19], vcc
	s_cbranch_execz .LBB1_203
; %bb.200:                              ;   in Loop: Header=BB1_143 Depth=1
	s_mov_b64 s[20:21], 0
.LBB1_201:                              ;   Parent Loop BB1_143 Depth=1
                                        ; =>  This Inner Loop Header: Depth=2
	s_sleep 1
	global_load_dwordx2 v[12:13], v33, s[10:11] offset:40
	global_load_dwordx2 v[28:29], v33, s[10:11]
	v_pk_mov_b32 v[30:31], v[8:9], v[8:9] op_sel:[0,1]
	s_waitcnt vmcnt(1)
	v_and_b32_e32 v8, v12, v30
	s_waitcnt vmcnt(0)
	v_mad_u64_u32 v[8:9], s[22:23], v8, 24, v[28:29]
	v_and_b32_e32 v3, v13, v31
	v_mov_b32_e32 v12, v9
	v_mad_u64_u32 v[12:13], s[22:23], v3, 24, v[12:13]
	v_mov_b32_e32 v9, v12
	global_load_dwordx2 v[28:29], v[8:9], off glc
	s_waitcnt vmcnt(0)
	global_atomic_cmpswap_x2 v[8:9], v33, v[28:31], s[10:11] offset:24 glc
	s_waitcnt vmcnt(0)
	buffer_invl2
	buffer_wbinvl1_vol
	v_cmp_eq_u64_e32 vcc, v[8:9], v[30:31]
	s_or_b64 s[20:21], vcc, s[20:21]
	s_andn2_b64 exec, exec, s[20:21]
	s_cbranch_execnz .LBB1_201
; %bb.202:                              ;   in Loop: Header=BB1_143 Depth=1
	s_or_b64 exec, exec, s[20:21]
.LBB1_203:                              ;   in Loop: Header=BB1_143 Depth=1
	s_or_b64 exec, exec, s[18:19]
.LBB1_204:                              ;   in Loop: Header=BB1_143 Depth=1
	s_or_b64 exec, exec, s[16:17]
	global_load_dwordx2 v[12:13], v33, s[10:11] offset:40
	global_load_dwordx4 v[28:31], v33, s[10:11]
	v_readfirstlane_b32 s16, v8
	v_readfirstlane_b32 s17, v9
	s_mov_b64 s[18:19], exec
	s_waitcnt vmcnt(1)
	v_readfirstlane_b32 s20, v12
	v_readfirstlane_b32 s21, v13
	s_and_b64 s[20:21], s[16:17], s[20:21]
	s_mul_i32 s22, s21, 24
	s_mul_hi_u32 s23, s20, 24
	s_mul_i32 s24, s20, 24
	s_add_i32 s22, s23, s22
	v_mov_b32_e32 v3, s22
	s_waitcnt vmcnt(0)
	v_add_co_u32_e32 v34, vcc, s24, v28
	v_addc_co_u32_e32 v35, vcc, v29, v3, vcc
	s_and_saveexec_b64 s[22:23], s[4:5]
	s_cbranch_execz .LBB1_206
; %bb.205:                              ;   in Loop: Header=BB1_143 Depth=1
	v_pk_mov_b32 v[8:9], s[18:19], s[18:19] op_sel:[0,1]
	global_store_dwordx4 v[34:35], v[8:11], off offset:8
.LBB1_206:                              ;   in Loop: Header=BB1_143 Depth=1
	s_or_b64 exec, exec, s[22:23]
	s_lshl_b64 s[18:19], s[20:21], 12
	v_mov_b32_e32 v3, s19
	v_add_co_u32_e32 v30, vcc, s18, v30
	v_addc_co_u32_e32 v3, vcc, v31, v3, vcc
	v_or_b32_e32 v9, v6, v2
	v_cmp_gt_u64_e64 vcc, s[12:13], 56
	s_lshl_b32 s18, s14, 2
	v_cndmask_b32_e32 v6, v9, v6, vcc
	s_add_i32 s18, s18, 28
	v_or_b32_e32 v8, 0, v7
	s_and_b32 s18, s18, 0x1e0
	v_and_b32_e32 v6, 0xffffff1f, v6
	v_cndmask_b32_e32 v13, v8, v7, vcc
	v_or_b32_e32 v12, s18, v6
	v_readfirstlane_b32 s18, v30
	v_readfirstlane_b32 s19, v3
	s_nop 4
	global_store_dwordx4 v36, v[12:15], s[18:19]
	global_store_dwordx4 v36, v[16:19], s[18:19] offset:16
	global_store_dwordx4 v36, v[20:23], s[18:19] offset:32
	global_store_dwordx4 v36, v[24:27], s[18:19] offset:48
	s_and_saveexec_b64 s[18:19], s[4:5]
	s_cbranch_execz .LBB1_214
; %bb.207:                              ;   in Loop: Header=BB1_143 Depth=1
	global_load_dwordx2 v[16:17], v33, s[10:11] offset:32 glc
	global_load_dwordx2 v[6:7], v33, s[10:11] offset:40
	v_mov_b32_e32 v14, s16
	v_mov_b32_e32 v15, s17
	s_waitcnt vmcnt(0)
	v_readfirstlane_b32 s20, v6
	v_readfirstlane_b32 s21, v7
	s_and_b64 s[20:21], s[20:21], s[16:17]
	s_mul_i32 s21, s21, 24
	s_mul_hi_u32 s22, s20, 24
	s_mul_i32 s20, s20, 24
	s_add_i32 s21, s22, s21
	v_mov_b32_e32 v6, s21
	v_add_co_u32_e32 v12, vcc, s20, v28
	v_addc_co_u32_e32 v13, vcc, v29, v6, vcc
	global_store_dwordx2 v[12:13], v[16:17], off
	buffer_wbl2
	s_waitcnt vmcnt(0)
	global_atomic_cmpswap_x2 v[8:9], v33, v[14:17], s[10:11] offset:32 glc
	s_waitcnt vmcnt(0)
	v_cmp_ne_u64_e32 vcc, v[8:9], v[16:17]
	s_and_saveexec_b64 s[20:21], vcc
	s_cbranch_execz .LBB1_210
; %bb.208:                              ;   in Loop: Header=BB1_143 Depth=1
	s_mov_b64 s[22:23], 0
.LBB1_209:                              ;   Parent Loop BB1_143 Depth=1
                                        ; =>  This Inner Loop Header: Depth=2
	s_sleep 1
	global_store_dwordx2 v[12:13], v[8:9], off
	v_mov_b32_e32 v6, s16
	v_mov_b32_e32 v7, s17
	buffer_wbl2
	s_waitcnt vmcnt(0)
	global_atomic_cmpswap_x2 v[6:7], v33, v[6:9], s[10:11] offset:32 glc
	s_waitcnt vmcnt(0)
	v_cmp_eq_u64_e32 vcc, v[6:7], v[8:9]
	s_or_b64 s[22:23], vcc, s[22:23]
	v_pk_mov_b32 v[8:9], v[6:7], v[6:7] op_sel:[0,1]
	s_andn2_b64 exec, exec, s[22:23]
	s_cbranch_execnz .LBB1_209
.LBB1_210:                              ;   in Loop: Header=BB1_143 Depth=1
	s_or_b64 exec, exec, s[20:21]
	global_load_dwordx2 v[6:7], v33, s[10:11] offset:16
	s_mov_b64 s[22:23], exec
	v_mbcnt_lo_u32_b32 v8, s22, 0
	v_mbcnt_hi_u32_b32 v8, s23, v8
	v_cmp_eq_u32_e32 vcc, 0, v8
	s_and_saveexec_b64 s[20:21], vcc
	s_cbranch_execz .LBB1_212
; %bb.211:                              ;   in Loop: Header=BB1_143 Depth=1
	s_bcnt1_i32_b64 s22, s[22:23]
	v_mov_b32_e32 v32, s22
	buffer_wbl2
	s_waitcnt vmcnt(0)
	global_atomic_add_x2 v[6:7], v[32:33], off offset:8
.LBB1_212:                              ;   in Loop: Header=BB1_143 Depth=1
	s_or_b64 exec, exec, s[20:21]
	s_waitcnt vmcnt(0)
	global_load_dwordx2 v[8:9], v[6:7], off offset:16
	s_waitcnt vmcnt(0)
	v_cmp_eq_u64_e32 vcc, 0, v[8:9]
	s_cbranch_vccnz .LBB1_214
; %bb.213:                              ;   in Loop: Header=BB1_143 Depth=1
	global_load_dword v32, v[6:7], off offset:24
	s_waitcnt vmcnt(0)
	v_and_b32_e32 v6, 0xffffff, v32
	v_readfirstlane_b32 m0, v6
	buffer_wbl2
	global_store_dwordx2 v[8:9], v[32:33], off
	s_sendmsg sendmsg(MSG_INTERRUPT)
.LBB1_214:                              ;   in Loop: Header=BB1_143 Depth=1
	s_or_b64 exec, exec, s[18:19]
	v_add_co_u32_e32 v6, vcc, v30, v36
	v_addc_co_u32_e32 v7, vcc, 0, v3, vcc
	s_branch .LBB1_218
.LBB1_215:                              ;   in Loop: Header=BB1_218 Depth=2
	s_or_b64 exec, exec, s[18:19]
	v_readfirstlane_b32 s18, v3
	s_cmp_eq_u32 s18, 0
	s_cbranch_scc1 .LBB1_217
; %bb.216:                              ;   in Loop: Header=BB1_218 Depth=2
	s_sleep 1
	s_cbranch_execnz .LBB1_218
	s_branch .LBB1_220
.LBB1_217:                              ;   in Loop: Header=BB1_143 Depth=1
	s_branch .LBB1_220
.LBB1_218:                              ;   Parent Loop BB1_143 Depth=1
                                        ; =>  This Inner Loop Header: Depth=2
	v_mov_b32_e32 v3, 1
	s_and_saveexec_b64 s[18:19], s[4:5]
	s_cbranch_execz .LBB1_215
; %bb.219:                              ;   in Loop: Header=BB1_218 Depth=2
	global_load_dword v3, v[34:35], off offset:20 glc
	s_waitcnt vmcnt(0)
	buffer_invl2
	buffer_wbinvl1_vol
	v_and_b32_e32 v3, 1, v3
	s_branch .LBB1_215
.LBB1_220:                              ;   in Loop: Header=BB1_143 Depth=1
	global_load_dwordx4 v[6:9], v[6:7], off
	s_and_saveexec_b64 s[18:19], s[4:5]
	s_cbranch_execz .LBB1_142
; %bb.221:                              ;   in Loop: Header=BB1_143 Depth=1
	global_load_dwordx2 v[8:9], v33, s[10:11] offset:40
	global_load_dwordx2 v[16:17], v33, s[10:11] offset:24 glc
	global_load_dwordx2 v[18:19], v33, s[10:11]
	v_mov_b32_e32 v3, s17
	s_waitcnt vmcnt(2)
	v_add_co_u32_e32 v15, vcc, 1, v8
	v_addc_co_u32_e32 v20, vcc, 0, v9, vcc
	v_add_co_u32_e32 v12, vcc, s16, v15
	v_addc_co_u32_e32 v13, vcc, v20, v3, vcc
	v_cmp_eq_u64_e32 vcc, 0, v[12:13]
	v_cndmask_b32_e32 v13, v13, v20, vcc
	v_cndmask_b32_e32 v12, v12, v15, vcc
	v_and_b32_e32 v3, v13, v9
	v_and_b32_e32 v8, v12, v8
	v_mul_lo_u32 v3, v3, 24
	v_mul_hi_u32 v9, v8, 24
	v_mul_lo_u32 v8, v8, 24
	v_add_u32_e32 v3, v9, v3
	s_waitcnt vmcnt(0)
	v_add_co_u32_e32 v8, vcc, v18, v8
	v_addc_co_u32_e32 v9, vcc, v19, v3, vcc
	v_mov_b32_e32 v14, v16
	global_store_dwordx2 v[8:9], v[16:17], off
	v_mov_b32_e32 v15, v17
	buffer_wbl2
	s_waitcnt vmcnt(0)
	global_atomic_cmpswap_x2 v[14:15], v33, v[12:15], s[10:11] offset:24 glc
	s_waitcnt vmcnt(0)
	v_cmp_ne_u64_e32 vcc, v[14:15], v[16:17]
	s_and_b64 exec, exec, vcc
	s_cbranch_execz .LBB1_142
; %bb.222:                              ;   in Loop: Header=BB1_143 Depth=1
	s_mov_b64 s[4:5], 0
.LBB1_223:                              ;   Parent Loop BB1_143 Depth=1
                                        ; =>  This Inner Loop Header: Depth=2
	s_sleep 1
	global_store_dwordx2 v[8:9], v[14:15], off
	buffer_wbl2
	s_waitcnt vmcnt(0)
	global_atomic_cmpswap_x2 v[16:17], v33, v[12:15], s[10:11] offset:24 glc
	s_waitcnt vmcnt(0)
	v_cmp_eq_u64_e32 vcc, v[16:17], v[14:15]
	s_or_b64 s[4:5], vcc, s[4:5]
	v_pk_mov_b32 v[14:15], v[16:17], v[16:17] op_sel:[0,1]
	s_andn2_b64 exec, exec, s[4:5]
	s_cbranch_execnz .LBB1_223
	s_branch .LBB1_142
.LBB1_224:
                                        ; implicit-def: $vgpr6_vgpr7
	s_cbranch_execnz .LBB1_226
	s_branch .LBB1_252
.LBB1_225:
	s_branch .LBB1_252
.LBB1_226:
	v_readfirstlane_b32 s4, v37
	v_cmp_eq_u32_e64 s[4:5], s4, v37
	v_pk_mov_b32 v[10:11], 0, 0
	s_and_saveexec_b64 s[6:7], s[4:5]
	s_cbranch_execz .LBB1_232
; %bb.227:
	s_waitcnt vmcnt(0)
	v_mov_b32_e32 v2, 0
	global_load_dwordx2 v[8:9], v2, s[10:11] offset:24 glc
	s_waitcnt vmcnt(0)
	buffer_invl2
	buffer_wbinvl1_vol
	global_load_dwordx2 v[6:7], v2, s[10:11] offset:40
	global_load_dwordx2 v[10:11], v2, s[10:11]
	s_waitcnt vmcnt(1)
	v_and_b32_e32 v3, v6, v8
	v_and_b32_e32 v6, v7, v9
	v_mul_lo_u32 v6, v6, 24
	v_mul_hi_u32 v7, v3, 24
	v_mul_lo_u32 v3, v3, 24
	v_add_u32_e32 v7, v7, v6
	s_waitcnt vmcnt(0)
	v_add_co_u32_e32 v6, vcc, v10, v3
	v_addc_co_u32_e32 v7, vcc, v11, v7, vcc
	global_load_dwordx2 v[6:7], v[6:7], off glc
	s_waitcnt vmcnt(0)
	global_atomic_cmpswap_x2 v[10:11], v2, v[6:9], s[10:11] offset:24 glc
	s_waitcnt vmcnt(0)
	buffer_invl2
	buffer_wbinvl1_vol
	v_cmp_ne_u64_e32 vcc, v[10:11], v[8:9]
	s_and_saveexec_b64 s[12:13], vcc
	s_cbranch_execz .LBB1_231
; %bb.228:
	s_mov_b64 s[14:15], 0
.LBB1_229:                              ; =>This Inner Loop Header: Depth=1
	s_sleep 1
	global_load_dwordx2 v[6:7], v2, s[10:11] offset:40
	global_load_dwordx2 v[12:13], v2, s[10:11]
	v_pk_mov_b32 v[8:9], v[10:11], v[10:11] op_sel:[0,1]
	s_waitcnt vmcnt(1)
	v_and_b32_e32 v6, v6, v8
	v_and_b32_e32 v3, v7, v9
	s_waitcnt vmcnt(0)
	v_mad_u64_u32 v[6:7], s[16:17], v6, 24, v[12:13]
	v_mov_b32_e32 v10, v7
	v_mad_u64_u32 v[10:11], s[16:17], v3, 24, v[10:11]
	v_mov_b32_e32 v7, v10
	global_load_dwordx2 v[6:7], v[6:7], off glc
	s_waitcnt vmcnt(0)
	global_atomic_cmpswap_x2 v[10:11], v2, v[6:9], s[10:11] offset:24 glc
	s_waitcnt vmcnt(0)
	buffer_invl2
	buffer_wbinvl1_vol
	v_cmp_eq_u64_e32 vcc, v[10:11], v[8:9]
	s_or_b64 s[14:15], vcc, s[14:15]
	s_andn2_b64 exec, exec, s[14:15]
	s_cbranch_execnz .LBB1_229
; %bb.230:
	s_or_b64 exec, exec, s[14:15]
.LBB1_231:
	s_or_b64 exec, exec, s[12:13]
.LBB1_232:
	s_or_b64 exec, exec, s[6:7]
	s_waitcnt vmcnt(0)
	v_mov_b32_e32 v2, 0
	global_load_dwordx2 v[12:13], v2, s[10:11] offset:40
	global_load_dwordx4 v[6:9], v2, s[10:11]
	v_readfirstlane_b32 s6, v10
	v_readfirstlane_b32 s7, v11
	s_mov_b64 s[12:13], exec
	s_waitcnt vmcnt(1)
	v_readfirstlane_b32 s14, v12
	v_readfirstlane_b32 s15, v13
	s_and_b64 s[14:15], s[6:7], s[14:15]
	s_mul_i32 s16, s15, 24
	s_mul_hi_u32 s17, s14, 24
	s_mul_i32 s18, s14, 24
	s_add_i32 s16, s17, s16
	v_mov_b32_e32 v3, s16
	s_waitcnt vmcnt(0)
	v_add_co_u32_e32 v10, vcc, s18, v6
	v_addc_co_u32_e32 v11, vcc, v7, v3, vcc
	s_and_saveexec_b64 s[16:17], s[4:5]
	s_cbranch_execz .LBB1_234
; %bb.233:
	v_pk_mov_b32 v[12:13], s[12:13], s[12:13] op_sel:[0,1]
	v_mov_b32_e32 v14, 2
	v_mov_b32_e32 v15, 1
	global_store_dwordx4 v[10:11], v[12:15], off offset:8
.LBB1_234:
	s_or_b64 exec, exec, s[16:17]
	s_lshl_b64 s[12:13], s[14:15], 12
	v_mov_b32_e32 v3, s13
	v_add_co_u32_e32 v12, vcc, s12, v8
	s_movk_i32 s12, 0xff1f
	v_addc_co_u32_e32 v13, vcc, v9, v3, vcc
	v_and_or_b32 v0, v0, s12, 32
	s_mov_b32 s12, 0
	v_mov_b32_e32 v3, v2
	v_readfirstlane_b32 s16, v12
	v_readfirstlane_b32 s17, v13
	s_mov_b32 s13, s12
	v_add_co_u32_e32 v8, vcc, v12, v36
	s_mov_b32 s14, s12
	s_mov_b32 s15, s12
	s_nop 0
	global_store_dwordx4 v36, v[0:3], s[16:17]
	v_addc_co_u32_e32 v9, vcc, 0, v13, vcc
	v_pk_mov_b32 v[0:1], s[12:13], s[12:13] op_sel:[0,1]
	v_pk_mov_b32 v[2:3], s[14:15], s[14:15] op_sel:[0,1]
	global_store_dwordx4 v36, v[0:3], s[16:17] offset:16
	global_store_dwordx4 v36, v[0:3], s[16:17] offset:32
	;; [unrolled: 1-line block ×3, first 2 shown]
	s_and_saveexec_b64 s[12:13], s[4:5]
	s_cbranch_execz .LBB1_242
; %bb.235:
	v_mov_b32_e32 v12, 0
	global_load_dwordx2 v[16:17], v12, s[10:11] offset:32 glc
	global_load_dwordx2 v[0:1], v12, s[10:11] offset:40
	v_mov_b32_e32 v14, s6
	v_mov_b32_e32 v15, s7
	s_waitcnt vmcnt(0)
	v_readfirstlane_b32 s14, v0
	v_readfirstlane_b32 s15, v1
	s_and_b64 s[14:15], s[14:15], s[6:7]
	s_mul_i32 s15, s15, 24
	s_mul_hi_u32 s16, s14, 24
	s_mul_i32 s14, s14, 24
	s_add_i32 s15, s16, s15
	v_mov_b32_e32 v0, s15
	v_add_co_u32_e32 v6, vcc, s14, v6
	v_addc_co_u32_e32 v7, vcc, v7, v0, vcc
	global_store_dwordx2 v[6:7], v[16:17], off
	buffer_wbl2
	s_waitcnt vmcnt(0)
	global_atomic_cmpswap_x2 v[2:3], v12, v[14:17], s[10:11] offset:32 glc
	s_waitcnt vmcnt(0)
	v_cmp_ne_u64_e32 vcc, v[2:3], v[16:17]
	s_and_saveexec_b64 s[14:15], vcc
	s_cbranch_execz .LBB1_238
; %bb.236:
	s_mov_b64 s[16:17], 0
.LBB1_237:                              ; =>This Inner Loop Header: Depth=1
	s_sleep 1
	global_store_dwordx2 v[6:7], v[2:3], off
	v_mov_b32_e32 v0, s6
	v_mov_b32_e32 v1, s7
	buffer_wbl2
	s_waitcnt vmcnt(0)
	global_atomic_cmpswap_x2 v[0:1], v12, v[0:3], s[10:11] offset:32 glc
	s_waitcnt vmcnt(0)
	v_cmp_eq_u64_e32 vcc, v[0:1], v[2:3]
	s_or_b64 s[16:17], vcc, s[16:17]
	v_pk_mov_b32 v[2:3], v[0:1], v[0:1] op_sel:[0,1]
	s_andn2_b64 exec, exec, s[16:17]
	s_cbranch_execnz .LBB1_237
.LBB1_238:
	s_or_b64 exec, exec, s[14:15]
	v_mov_b32_e32 v3, 0
	global_load_dwordx2 v[0:1], v3, s[10:11] offset:16
	s_mov_b64 s[14:15], exec
	v_mbcnt_lo_u32_b32 v2, s14, 0
	v_mbcnt_hi_u32_b32 v2, s15, v2
	v_cmp_eq_u32_e32 vcc, 0, v2
	s_and_saveexec_b64 s[16:17], vcc
	s_cbranch_execz .LBB1_240
; %bb.239:
	s_bcnt1_i32_b64 s14, s[14:15]
	v_mov_b32_e32 v2, s14
	buffer_wbl2
	s_waitcnt vmcnt(0)
	global_atomic_add_x2 v[0:1], v[2:3], off offset:8
.LBB1_240:
	s_or_b64 exec, exec, s[16:17]
	s_waitcnt vmcnt(0)
	global_load_dwordx2 v[2:3], v[0:1], off offset:16
	s_waitcnt vmcnt(0)
	v_cmp_eq_u64_e32 vcc, 0, v[2:3]
	s_cbranch_vccnz .LBB1_242
; %bb.241:
	global_load_dword v0, v[0:1], off offset:24
	v_mov_b32_e32 v1, 0
	buffer_wbl2
	s_waitcnt vmcnt(0)
	global_store_dwordx2 v[2:3], v[0:1], off
	v_and_b32_e32 v0, 0xffffff, v0
	v_readfirstlane_b32 m0, v0
	s_sendmsg sendmsg(MSG_INTERRUPT)
.LBB1_242:
	s_or_b64 exec, exec, s[12:13]
	s_branch .LBB1_246
.LBB1_243:                              ;   in Loop: Header=BB1_246 Depth=1
	s_or_b64 exec, exec, s[12:13]
	v_readfirstlane_b32 s12, v0
	s_cmp_eq_u32 s12, 0
	s_cbranch_scc1 .LBB1_245
; %bb.244:                              ;   in Loop: Header=BB1_246 Depth=1
	s_sleep 1
	s_cbranch_execnz .LBB1_246
	s_branch .LBB1_248
.LBB1_245:
	s_branch .LBB1_248
.LBB1_246:                              ; =>This Inner Loop Header: Depth=1
	v_mov_b32_e32 v0, 1
	s_and_saveexec_b64 s[12:13], s[4:5]
	s_cbranch_execz .LBB1_243
; %bb.247:                              ;   in Loop: Header=BB1_246 Depth=1
	global_load_dword v0, v[10:11], off offset:20 glc
	s_waitcnt vmcnt(0)
	buffer_invl2
	buffer_wbinvl1_vol
	v_and_b32_e32 v0, 1, v0
	s_branch .LBB1_243
.LBB1_248:
	global_load_dwordx2 v[6:7], v[8:9], off
	s_and_saveexec_b64 s[12:13], s[4:5]
	s_cbranch_execz .LBB1_251
; %bb.249:
	v_mov_b32_e32 v10, 0
	global_load_dwordx2 v[8:9], v10, s[10:11] offset:40
	global_load_dwordx2 v[12:13], v10, s[10:11] offset:24 glc
	global_load_dwordx2 v[14:15], v10, s[10:11]
	v_mov_b32_e32 v1, s7
	s_mov_b64 s[4:5], 0
	s_waitcnt vmcnt(2)
	v_add_co_u32_e32 v3, vcc, 1, v8
	v_addc_co_u32_e32 v11, vcc, 0, v9, vcc
	v_add_co_u32_e32 v0, vcc, s6, v3
	v_addc_co_u32_e32 v1, vcc, v11, v1, vcc
	v_cmp_eq_u64_e32 vcc, 0, v[0:1]
	v_cndmask_b32_e32 v1, v1, v11, vcc
	v_cndmask_b32_e32 v0, v0, v3, vcc
	v_and_b32_e32 v3, v1, v9
	v_and_b32_e32 v8, v0, v8
	v_mul_lo_u32 v3, v3, 24
	v_mul_hi_u32 v9, v8, 24
	v_mul_lo_u32 v8, v8, 24
	v_add_u32_e32 v3, v9, v3
	s_waitcnt vmcnt(0)
	v_add_co_u32_e32 v8, vcc, v14, v8
	v_addc_co_u32_e32 v9, vcc, v15, v3, vcc
	v_mov_b32_e32 v2, v12
	global_store_dwordx2 v[8:9], v[12:13], off
	v_mov_b32_e32 v3, v13
	buffer_wbl2
	s_waitcnt vmcnt(0)
	global_atomic_cmpswap_x2 v[2:3], v10, v[0:3], s[10:11] offset:24 glc
	s_waitcnt vmcnt(0)
	v_cmp_ne_u64_e32 vcc, v[2:3], v[12:13]
	s_and_b64 exec, exec, vcc
	s_cbranch_execz .LBB1_251
.LBB1_250:                              ; =>This Inner Loop Header: Depth=1
	s_sleep 1
	global_store_dwordx2 v[8:9], v[2:3], off
	buffer_wbl2
	s_waitcnt vmcnt(0)
	global_atomic_cmpswap_x2 v[12:13], v10, v[0:3], s[10:11] offset:24 glc
	s_waitcnt vmcnt(0)
	v_cmp_eq_u64_e32 vcc, v[12:13], v[2:3]
	s_or_b64 s[4:5], vcc, s[4:5]
	v_pk_mov_b32 v[2:3], v[12:13], v[12:13] op_sel:[0,1]
	s_andn2_b64 exec, exec, s[4:5]
	s_cbranch_execnz .LBB1_250
.LBB1_251:
	s_or_b64 exec, exec, s[12:13]
.LBB1_252:
	v_readfirstlane_b32 s4, v37
	v_cmp_eq_u32_e64 s[4:5], s4, v37
	v_pk_mov_b32 v[10:11], 0, 0
	s_and_saveexec_b64 s[6:7], s[4:5]
	s_cbranch_execz .LBB1_258
; %bb.253:
	s_waitcnt vmcnt(0)
	v_mov_b32_e32 v0, 0
	global_load_dwordx2 v[12:13], v0, s[10:11] offset:24 glc
	s_waitcnt vmcnt(0)
	buffer_invl2
	buffer_wbinvl1_vol
	global_load_dwordx2 v[2:3], v0, s[10:11] offset:40
	global_load_dwordx2 v[8:9], v0, s[10:11]
	s_waitcnt vmcnt(1)
	v_and_b32_e32 v1, v2, v12
	v_and_b32_e32 v2, v3, v13
	v_mul_lo_u32 v2, v2, 24
	v_mul_hi_u32 v3, v1, 24
	v_mul_lo_u32 v1, v1, 24
	v_add_u32_e32 v3, v3, v2
	s_waitcnt vmcnt(0)
	v_add_co_u32_e32 v2, vcc, v8, v1
	v_addc_co_u32_e32 v3, vcc, v9, v3, vcc
	global_load_dwordx2 v[10:11], v[2:3], off glc
	s_waitcnt vmcnt(0)
	global_atomic_cmpswap_x2 v[10:11], v0, v[10:13], s[10:11] offset:24 glc
	s_waitcnt vmcnt(0)
	buffer_invl2
	buffer_wbinvl1_vol
	v_cmp_ne_u64_e32 vcc, v[10:11], v[12:13]
	s_and_saveexec_b64 s[12:13], vcc
	s_cbranch_execz .LBB1_257
; %bb.254:
	s_mov_b64 s[14:15], 0
.LBB1_255:                              ; =>This Inner Loop Header: Depth=1
	s_sleep 1
	global_load_dwordx2 v[2:3], v0, s[10:11] offset:40
	global_load_dwordx2 v[8:9], v0, s[10:11]
	v_pk_mov_b32 v[12:13], v[10:11], v[10:11] op_sel:[0,1]
	s_waitcnt vmcnt(1)
	v_and_b32_e32 v2, v2, v12
	v_and_b32_e32 v1, v3, v13
	s_waitcnt vmcnt(0)
	v_mad_u64_u32 v[2:3], s[16:17], v2, 24, v[8:9]
	v_mov_b32_e32 v8, v3
	v_mad_u64_u32 v[8:9], s[16:17], v1, 24, v[8:9]
	v_mov_b32_e32 v3, v8
	global_load_dwordx2 v[10:11], v[2:3], off glc
	s_waitcnt vmcnt(0)
	global_atomic_cmpswap_x2 v[10:11], v0, v[10:13], s[10:11] offset:24 glc
	s_waitcnt vmcnt(0)
	buffer_invl2
	buffer_wbinvl1_vol
	v_cmp_eq_u64_e32 vcc, v[10:11], v[12:13]
	s_or_b64 s[14:15], vcc, s[14:15]
	s_andn2_b64 exec, exec, s[14:15]
	s_cbranch_execnz .LBB1_255
; %bb.256:
	s_or_b64 exec, exec, s[14:15]
.LBB1_257:
	s_or_b64 exec, exec, s[12:13]
.LBB1_258:
	s_or_b64 exec, exec, s[6:7]
	s_waitcnt vmcnt(0)
	v_mov_b32_e32 v9, 0
	global_load_dwordx2 v[12:13], v9, s[10:11] offset:40
	global_load_dwordx4 v[0:3], v9, s[10:11]
	v_readfirstlane_b32 s6, v10
	v_readfirstlane_b32 s7, v11
	s_mov_b64 s[12:13], exec
	s_waitcnt vmcnt(1)
	v_readfirstlane_b32 s14, v12
	v_readfirstlane_b32 s15, v13
	s_and_b64 s[14:15], s[6:7], s[14:15]
	s_mul_i32 s16, s15, 24
	s_mul_hi_u32 s17, s14, 24
	s_mul_i32 s18, s14, 24
	s_add_i32 s16, s17, s16
	v_mov_b32_e32 v8, s16
	s_waitcnt vmcnt(0)
	v_add_co_u32_e32 v10, vcc, s18, v0
	v_addc_co_u32_e32 v11, vcc, v1, v8, vcc
	s_and_saveexec_b64 s[16:17], s[4:5]
	s_cbranch_execz .LBB1_260
; %bb.259:
	v_pk_mov_b32 v[12:13], s[12:13], s[12:13] op_sel:[0,1]
	v_mov_b32_e32 v14, 2
	v_mov_b32_e32 v15, 1
	global_store_dwordx4 v[10:11], v[12:15], off offset:8
.LBB1_260:
	s_or_b64 exec, exec, s[16:17]
	s_lshl_b64 s[12:13], s[14:15], 12
	v_mov_b32_e32 v8, s13
	v_add_co_u32_e32 v2, vcc, s12, v2
	s_movk_i32 s12, 0xff1f
	v_addc_co_u32_e32 v3, vcc, v3, v8, vcc
	v_and_or_b32 v6, v6, s12, 32
	s_mov_b32 s12, 0
	v_mov_b32_e32 v8, 0x331
	v_readfirstlane_b32 s16, v2
	v_readfirstlane_b32 s17, v3
	s_mov_b32 s13, s12
	v_add_co_u32_e32 v12, vcc, v2, v36
	s_mov_b32 s14, s12
	s_mov_b32 s15, s12
	s_nop 0
	global_store_dwordx4 v36, v[6:9], s[16:17]
	v_addc_co_u32_e32 v13, vcc, 0, v3, vcc
	v_pk_mov_b32 v[6:7], s[12:13], s[12:13] op_sel:[0,1]
	v_pk_mov_b32 v[8:9], s[14:15], s[14:15] op_sel:[0,1]
	global_store_dwordx4 v36, v[6:9], s[16:17] offset:16
	global_store_dwordx4 v36, v[6:9], s[16:17] offset:32
	;; [unrolled: 1-line block ×3, first 2 shown]
	s_and_saveexec_b64 s[12:13], s[4:5]
	s_cbranch_execz .LBB1_268
; %bb.261:
	v_mov_b32_e32 v8, 0
	global_load_dwordx2 v[16:17], v8, s[10:11] offset:32 glc
	global_load_dwordx2 v[2:3], v8, s[10:11] offset:40
	v_mov_b32_e32 v14, s6
	v_mov_b32_e32 v15, s7
	s_waitcnt vmcnt(0)
	v_readfirstlane_b32 s14, v2
	v_readfirstlane_b32 s15, v3
	s_and_b64 s[14:15], s[14:15], s[6:7]
	s_mul_i32 s15, s15, 24
	s_mul_hi_u32 s16, s14, 24
	s_mul_i32 s14, s14, 24
	s_add_i32 s15, s16, s15
	v_mov_b32_e32 v2, s15
	v_add_co_u32_e32 v6, vcc, s14, v0
	v_addc_co_u32_e32 v7, vcc, v1, v2, vcc
	global_store_dwordx2 v[6:7], v[16:17], off
	buffer_wbl2
	s_waitcnt vmcnt(0)
	global_atomic_cmpswap_x2 v[2:3], v8, v[14:17], s[10:11] offset:32 glc
	s_waitcnt vmcnt(0)
	v_cmp_ne_u64_e32 vcc, v[2:3], v[16:17]
	s_and_saveexec_b64 s[14:15], vcc
	s_cbranch_execz .LBB1_264
; %bb.262:
	s_mov_b64 s[16:17], 0
.LBB1_263:                              ; =>This Inner Loop Header: Depth=1
	s_sleep 1
	global_store_dwordx2 v[6:7], v[2:3], off
	v_mov_b32_e32 v0, s6
	v_mov_b32_e32 v1, s7
	buffer_wbl2
	s_waitcnt vmcnt(0)
	global_atomic_cmpswap_x2 v[0:1], v8, v[0:3], s[10:11] offset:32 glc
	s_waitcnt vmcnt(0)
	v_cmp_eq_u64_e32 vcc, v[0:1], v[2:3]
	s_or_b64 s[16:17], vcc, s[16:17]
	v_pk_mov_b32 v[2:3], v[0:1], v[0:1] op_sel:[0,1]
	s_andn2_b64 exec, exec, s[16:17]
	s_cbranch_execnz .LBB1_263
.LBB1_264:
	s_or_b64 exec, exec, s[14:15]
	v_mov_b32_e32 v3, 0
	global_load_dwordx2 v[0:1], v3, s[10:11] offset:16
	s_mov_b64 s[14:15], exec
	v_mbcnt_lo_u32_b32 v2, s14, 0
	v_mbcnt_hi_u32_b32 v2, s15, v2
	v_cmp_eq_u32_e32 vcc, 0, v2
	s_and_saveexec_b64 s[16:17], vcc
	s_cbranch_execz .LBB1_266
; %bb.265:
	s_bcnt1_i32_b64 s14, s[14:15]
	v_mov_b32_e32 v2, s14
	buffer_wbl2
	s_waitcnt vmcnt(0)
	global_atomic_add_x2 v[0:1], v[2:3], off offset:8
.LBB1_266:
	s_or_b64 exec, exec, s[16:17]
	s_waitcnt vmcnt(0)
	global_load_dwordx2 v[2:3], v[0:1], off offset:16
	s_waitcnt vmcnt(0)
	v_cmp_eq_u64_e32 vcc, 0, v[2:3]
	s_cbranch_vccnz .LBB1_268
; %bb.267:
	global_load_dword v0, v[0:1], off offset:24
	v_mov_b32_e32 v1, 0
	buffer_wbl2
	s_waitcnt vmcnt(0)
	global_store_dwordx2 v[2:3], v[0:1], off
	v_and_b32_e32 v0, 0xffffff, v0
	v_readfirstlane_b32 m0, v0
	s_sendmsg sendmsg(MSG_INTERRUPT)
.LBB1_268:
	s_or_b64 exec, exec, s[12:13]
	s_branch .LBB1_272
.LBB1_269:                              ;   in Loop: Header=BB1_272 Depth=1
	s_or_b64 exec, exec, s[12:13]
	v_readfirstlane_b32 s12, v0
	s_cmp_eq_u32 s12, 0
	s_cbranch_scc1 .LBB1_271
; %bb.270:                              ;   in Loop: Header=BB1_272 Depth=1
	s_sleep 1
	s_cbranch_execnz .LBB1_272
	s_branch .LBB1_274
.LBB1_271:
	s_branch .LBB1_274
.LBB1_272:                              ; =>This Inner Loop Header: Depth=1
	v_mov_b32_e32 v0, 1
	s_and_saveexec_b64 s[12:13], s[4:5]
	s_cbranch_execz .LBB1_269
; %bb.273:                              ;   in Loop: Header=BB1_272 Depth=1
	global_load_dword v0, v[10:11], off offset:20 glc
	s_waitcnt vmcnt(0)
	buffer_invl2
	buffer_wbinvl1_vol
	v_and_b32_e32 v0, 1, v0
	s_branch .LBB1_269
.LBB1_274:
	global_load_dwordx2 v[0:1], v[12:13], off
	s_and_saveexec_b64 s[12:13], s[4:5]
	s_cbranch_execz .LBB1_277
; %bb.275:
	v_mov_b32_e32 v10, 0
	global_load_dwordx2 v[2:3], v10, s[10:11] offset:40
	global_load_dwordx2 v[12:13], v10, s[10:11] offset:24 glc
	global_load_dwordx2 v[14:15], v10, s[10:11]
	v_mov_b32_e32 v7, s7
	s_mov_b64 s[4:5], 0
	s_waitcnt vmcnt(2)
	v_add_co_u32_e32 v9, vcc, 1, v2
	v_addc_co_u32_e32 v11, vcc, 0, v3, vcc
	v_add_co_u32_e32 v6, vcc, s6, v9
	v_addc_co_u32_e32 v7, vcc, v11, v7, vcc
	v_cmp_eq_u64_e32 vcc, 0, v[6:7]
	v_cndmask_b32_e32 v7, v7, v11, vcc
	v_cndmask_b32_e32 v6, v6, v9, vcc
	v_and_b32_e32 v3, v7, v3
	v_and_b32_e32 v2, v6, v2
	v_mul_lo_u32 v3, v3, 24
	v_mul_hi_u32 v9, v2, 24
	v_mul_lo_u32 v2, v2, 24
	v_add_u32_e32 v3, v9, v3
	s_waitcnt vmcnt(0)
	v_add_co_u32_e32 v2, vcc, v14, v2
	v_addc_co_u32_e32 v3, vcc, v15, v3, vcc
	v_mov_b32_e32 v8, v12
	global_store_dwordx2 v[2:3], v[12:13], off
	v_mov_b32_e32 v9, v13
	buffer_wbl2
	s_waitcnt vmcnt(0)
	global_atomic_cmpswap_x2 v[8:9], v10, v[6:9], s[10:11] offset:24 glc
	s_waitcnt vmcnt(0)
	v_cmp_ne_u64_e32 vcc, v[8:9], v[12:13]
	s_and_b64 exec, exec, vcc
	s_cbranch_execz .LBB1_277
.LBB1_276:                              ; =>This Inner Loop Header: Depth=1
	s_sleep 1
	global_store_dwordx2 v[2:3], v[8:9], off
	buffer_wbl2
	s_waitcnt vmcnt(0)
	global_atomic_cmpswap_x2 v[12:13], v10, v[6:9], s[10:11] offset:24 glc
	s_waitcnt vmcnt(0)
	v_cmp_eq_u64_e32 vcc, v[12:13], v[8:9]
	s_or_b64 s[4:5], vcc, s[4:5]
	v_pk_mov_b32 v[8:9], v[12:13], v[12:13] op_sel:[0,1]
	s_andn2_b64 exec, exec, s[4:5]
	s_cbranch_execnz .LBB1_276
.LBB1_277:
	s_or_b64 exec, exec, s[12:13]
	s_mov_b64 s[4:5], 0
	v_pk_mov_b32 v[6:7], v[4:5], v[4:5] op_sel:[0,1]
.LBB1_278:                              ; =>This Inner Loop Header: Depth=1
	flat_load_ubyte v8, v[6:7]
	v_add_co_u32_e32 v2, vcc, 1, v6
	v_addc_co_u32_e32 v3, vcc, 0, v7, vcc
	v_pk_mov_b32 v[6:7], v[2:3], v[2:3] op_sel:[0,1]
	s_waitcnt vmcnt(0) lgkmcnt(0)
	v_cmp_eq_u16_e32 vcc, 0, v8
	s_or_b64 s[4:5], vcc, s[4:5]
	s_andn2_b64 exec, exec, s[4:5]
	s_cbranch_execnz .LBB1_278
; %bb.279:
	s_or_b64 exec, exec, s[4:5]
	s_mov_b64 s[6:7], 0
	v_cmp_ne_u64_e32 vcc, 0, v[4:5]
	s_and_saveexec_b64 s[4:5], vcc
	s_xor_b64 s[12:13], exec, s[4:5]
	s_cbranch_execz .LBB1_365
; %bb.280:
	v_sub_u32_e32 v26, v2, v4
	v_ashrrev_i32_e32 v27, 31, v26
	v_and_b32_e32 v28, 2, v0
	v_mov_b32_e32 v31, 0
	v_and_b32_e32 v0, -3, v0
	s_mov_b32 s22, 0
	s_movk_i32 s23, 0xff1f
	v_mov_b32_e32 v8, 2
	v_mov_b32_e32 v9, 1
	s_branch .LBB1_282
.LBB1_281:                              ;   in Loop: Header=BB1_282 Depth=1
	s_or_b64 exec, exec, s[16:17]
	v_sub_co_u32_e32 v26, vcc, v26, v32
	v_subb_co_u32_e32 v27, vcc, v27, v33, vcc
	v_cmp_eq_u64_e32 vcc, 0, v[26:27]
	s_or_b64 s[6:7], vcc, s[6:7]
	v_add_co_u32_e32 v4, vcc, v4, v32
	v_addc_co_u32_e32 v5, vcc, v5, v33, vcc
	s_andn2_b64 exec, exec, s[6:7]
	s_cbranch_execz .LBB1_364
.LBB1_282:                              ; =>This Loop Header: Depth=1
                                        ;     Child Loop BB1_285 Depth 2
                                        ;     Child Loop BB1_293 Depth 2
                                        ;     Child Loop BB1_301 Depth 2
                                        ;     Child Loop BB1_309 Depth 2
                                        ;     Child Loop BB1_317 Depth 2
                                        ;     Child Loop BB1_325 Depth 2
                                        ;     Child Loop BB1_333 Depth 2
                                        ;     Child Loop BB1_341 Depth 2
                                        ;     Child Loop BB1_349 Depth 2
                                        ;     Child Loop BB1_358 Depth 2
                                        ;     Child Loop BB1_363 Depth 2
	v_cmp_gt_u64_e32 vcc, 56, v[26:27]
	v_cndmask_b32_e32 v33, 0, v27, vcc
	v_cndmask_b32_e32 v32, 56, v26, vcc
	v_cmp_gt_u64_e32 vcc, 8, v[26:27]
                                        ; implicit-def: $vgpr2_vgpr3
                                        ; implicit-def: $sgpr14
	s_and_saveexec_b64 s[4:5], vcc
	s_xor_b64 s[4:5], exec, s[4:5]
	s_cbranch_execz .LBB1_288
; %bb.283:                              ;   in Loop: Header=BB1_282 Depth=1
	s_mov_b64 s[16:17], 0
	v_cmp_ne_u64_e32 vcc, 0, v[26:27]
	s_waitcnt vmcnt(0)
	v_pk_mov_b32 v[2:3], 0, 0
	s_and_saveexec_b64 s[14:15], vcc
	s_cbranch_execz .LBB1_287
; %bb.284:                              ;   in Loop: Header=BB1_282 Depth=1
	v_lshlrev_b64 v[6:7], 3, v[32:33]
	v_pk_mov_b32 v[2:3], 0, 0
	v_pk_mov_b32 v[10:11], v[4:5], v[4:5] op_sel:[0,1]
	s_mov_b64 s[18:19], 0
.LBB1_285:                              ;   Parent Loop BB1_282 Depth=1
                                        ; =>  This Inner Loop Header: Depth=2
	flat_load_ubyte v7, v[10:11]
	v_mov_b32_e32 v13, s22
	v_add_co_u32_e32 v10, vcc, 1, v10
	v_addc_co_u32_e32 v11, vcc, 0, v11, vcc
	s_waitcnt vmcnt(0) lgkmcnt(0)
	v_and_b32_e32 v12, 0xffff, v7
	v_lshlrev_b64 v[12:13], s18, v[12:13]
	s_add_u32 s18, s18, 8
	s_addc_u32 s19, s19, 0
	v_cmp_eq_u32_e32 vcc, s18, v6
	v_or_b32_e32 v3, v13, v3
	s_or_b64 s[16:17], vcc, s[16:17]
	v_or_b32_e32 v2, v12, v2
	s_andn2_b64 exec, exec, s[16:17]
	s_cbranch_execnz .LBB1_285
; %bb.286:                              ;   in Loop: Header=BB1_282 Depth=1
	s_or_b64 exec, exec, s[16:17]
.LBB1_287:                              ;   in Loop: Header=BB1_282 Depth=1
	s_or_b64 exec, exec, s[14:15]
	s_mov_b32 s14, 0
.LBB1_288:                              ;   in Loop: Header=BB1_282 Depth=1
	s_or_saveexec_b64 s[4:5], s[4:5]
	v_mov_b32_e32 v12, s14
	v_pk_mov_b32 v[6:7], v[4:5], v[4:5] op_sel:[0,1]
	s_xor_b64 exec, exec, s[4:5]
	s_cbranch_execz .LBB1_290
; %bb.289:                              ;   in Loop: Header=BB1_282 Depth=1
	s_waitcnt vmcnt(0)
	flat_load_dwordx2 v[2:3], v[4:5]
	v_add_u32_e32 v12, -8, v32
	s_waitcnt vmcnt(0) lgkmcnt(0)
	v_and_b32_e32 v6, 0xff, v3
	v_and_b32_e32 v7, 0xff00, v3
	;; [unrolled: 1-line block ×4, first 2 shown]
	v_or_b32_e32 v6, v6, v7
	v_or3_b32 v3, v6, v10, v3
	v_add_co_u32_e32 v6, vcc, 8, v4
	v_or3_b32 v2, v2, 0, 0
	v_addc_co_u32_e32 v7, vcc, 0, v5, vcc
.LBB1_290:                              ;   in Loop: Header=BB1_282 Depth=1
	s_or_b64 exec, exec, s[4:5]
	v_cmp_gt_u32_e32 vcc, 8, v12
                                        ; implicit-def: $vgpr10_vgpr11
                                        ; implicit-def: $sgpr14
	s_and_saveexec_b64 s[4:5], vcc
	s_xor_b64 s[4:5], exec, s[4:5]
	s_cbranch_execz .LBB1_296
; %bb.291:                              ;   in Loop: Header=BB1_282 Depth=1
	v_cmp_ne_u32_e32 vcc, 0, v12
	v_pk_mov_b32 v[10:11], 0, 0
	s_and_saveexec_b64 s[14:15], vcc
	s_cbranch_execz .LBB1_295
; %bb.292:                              ;   in Loop: Header=BB1_282 Depth=1
	s_mov_b64 s[16:17], 0
	v_pk_mov_b32 v[10:11], 0, 0
	s_mov_b64 s[18:19], 0
	s_mov_b64 s[20:21], 0
.LBB1_293:                              ;   Parent Loop BB1_282 Depth=1
                                        ; =>  This Inner Loop Header: Depth=2
	v_mov_b32_e32 v13, s21
	v_add_co_u32_e32 v14, vcc, s20, v6
	v_addc_co_u32_e32 v15, vcc, v7, v13, vcc
	flat_load_ubyte v13, v[14:15]
	s_add_u32 s20, s20, 1
	v_mov_b32_e32 v15, s22
	s_addc_u32 s21, s21, 0
	v_cmp_eq_u32_e32 vcc, s20, v12
	s_waitcnt vmcnt(0) lgkmcnt(0)
	v_and_b32_e32 v14, 0xffff, v13
	v_lshlrev_b64 v[14:15], s18, v[14:15]
	s_add_u32 s18, s18, 8
	s_addc_u32 s19, s19, 0
	v_or_b32_e32 v11, v15, v11
	s_or_b64 s[16:17], vcc, s[16:17]
	v_or_b32_e32 v10, v14, v10
	s_andn2_b64 exec, exec, s[16:17]
	s_cbranch_execnz .LBB1_293
; %bb.294:                              ;   in Loop: Header=BB1_282 Depth=1
	s_or_b64 exec, exec, s[16:17]
.LBB1_295:                              ;   in Loop: Header=BB1_282 Depth=1
	s_or_b64 exec, exec, s[14:15]
	s_mov_b32 s14, 0
                                        ; implicit-def: $vgpr12
.LBB1_296:                              ;   in Loop: Header=BB1_282 Depth=1
	s_or_saveexec_b64 s[4:5], s[4:5]
	v_mov_b32_e32 v14, s14
	s_xor_b64 exec, exec, s[4:5]
	s_cbranch_execz .LBB1_298
; %bb.297:                              ;   in Loop: Header=BB1_282 Depth=1
	flat_load_dwordx2 v[10:11], v[6:7]
	v_add_u32_e32 v14, -8, v12
	v_add_co_u32_e32 v6, vcc, 8, v6
	v_addc_co_u32_e32 v7, vcc, 0, v7, vcc
	s_waitcnt vmcnt(0) lgkmcnt(0)
	v_and_b32_e32 v12, 0xff, v11
	v_and_b32_e32 v13, 0xff00, v11
	;; [unrolled: 1-line block ×4, first 2 shown]
	v_or_b32_e32 v12, v12, v13
	v_or3_b32 v10, v10, 0, 0
	v_or3_b32 v11, v12, v15, v11
.LBB1_298:                              ;   in Loop: Header=BB1_282 Depth=1
	s_or_b64 exec, exec, s[4:5]
	v_cmp_gt_u32_e32 vcc, 8, v14
                                        ; implicit-def: $sgpr14
	s_and_saveexec_b64 s[4:5], vcc
	s_xor_b64 s[4:5], exec, s[4:5]
	s_cbranch_execz .LBB1_304
; %bb.299:                              ;   in Loop: Header=BB1_282 Depth=1
	v_cmp_ne_u32_e32 vcc, 0, v14
	v_pk_mov_b32 v[12:13], 0, 0
	s_and_saveexec_b64 s[14:15], vcc
	s_cbranch_execz .LBB1_303
; %bb.300:                              ;   in Loop: Header=BB1_282 Depth=1
	s_mov_b64 s[16:17], 0
	v_pk_mov_b32 v[12:13], 0, 0
	s_mov_b64 s[18:19], 0
	s_mov_b64 s[20:21], 0
.LBB1_301:                              ;   Parent Loop BB1_282 Depth=1
                                        ; =>  This Inner Loop Header: Depth=2
	v_mov_b32_e32 v15, s21
	v_add_co_u32_e32 v16, vcc, s20, v6
	v_addc_co_u32_e32 v17, vcc, v7, v15, vcc
	flat_load_ubyte v15, v[16:17]
	s_add_u32 s20, s20, 1
	v_mov_b32_e32 v17, s22
	s_addc_u32 s21, s21, 0
	v_cmp_eq_u32_e32 vcc, s20, v14
	s_waitcnt vmcnt(0) lgkmcnt(0)
	v_and_b32_e32 v16, 0xffff, v15
	v_lshlrev_b64 v[16:17], s18, v[16:17]
	s_add_u32 s18, s18, 8
	s_addc_u32 s19, s19, 0
	v_or_b32_e32 v13, v17, v13
	s_or_b64 s[16:17], vcc, s[16:17]
	v_or_b32_e32 v12, v16, v12
	s_andn2_b64 exec, exec, s[16:17]
	s_cbranch_execnz .LBB1_301
; %bb.302:                              ;   in Loop: Header=BB1_282 Depth=1
	s_or_b64 exec, exec, s[16:17]
.LBB1_303:                              ;   in Loop: Header=BB1_282 Depth=1
	s_or_b64 exec, exec, s[14:15]
	s_mov_b32 s14, 0
                                        ; implicit-def: $vgpr14
.LBB1_304:                              ;   in Loop: Header=BB1_282 Depth=1
	s_or_saveexec_b64 s[4:5], s[4:5]
	v_mov_b32_e32 v16, s14
	s_xor_b64 exec, exec, s[4:5]
	s_cbranch_execz .LBB1_306
; %bb.305:                              ;   in Loop: Header=BB1_282 Depth=1
	flat_load_dwordx2 v[12:13], v[6:7]
	v_add_u32_e32 v16, -8, v14
	v_add_co_u32_e32 v6, vcc, 8, v6
	v_addc_co_u32_e32 v7, vcc, 0, v7, vcc
	s_waitcnt vmcnt(0) lgkmcnt(0)
	v_and_b32_e32 v14, 0xff, v13
	v_and_b32_e32 v15, 0xff00, v13
	;; [unrolled: 1-line block ×4, first 2 shown]
	v_or_b32_e32 v14, v14, v15
	v_or3_b32 v12, v12, 0, 0
	v_or3_b32 v13, v14, v17, v13
.LBB1_306:                              ;   in Loop: Header=BB1_282 Depth=1
	s_or_b64 exec, exec, s[4:5]
	v_cmp_gt_u32_e32 vcc, 8, v16
                                        ; implicit-def: $vgpr14_vgpr15
                                        ; implicit-def: $sgpr14
	s_and_saveexec_b64 s[4:5], vcc
	s_xor_b64 s[4:5], exec, s[4:5]
	s_cbranch_execz .LBB1_312
; %bb.307:                              ;   in Loop: Header=BB1_282 Depth=1
	v_cmp_ne_u32_e32 vcc, 0, v16
	v_pk_mov_b32 v[14:15], 0, 0
	s_and_saveexec_b64 s[14:15], vcc
	s_cbranch_execz .LBB1_311
; %bb.308:                              ;   in Loop: Header=BB1_282 Depth=1
	s_mov_b64 s[16:17], 0
	v_pk_mov_b32 v[14:15], 0, 0
	s_mov_b64 s[18:19], 0
	s_mov_b64 s[20:21], 0
.LBB1_309:                              ;   Parent Loop BB1_282 Depth=1
                                        ; =>  This Inner Loop Header: Depth=2
	v_mov_b32_e32 v17, s21
	v_add_co_u32_e32 v18, vcc, s20, v6
	v_addc_co_u32_e32 v19, vcc, v7, v17, vcc
	flat_load_ubyte v17, v[18:19]
	s_add_u32 s20, s20, 1
	v_mov_b32_e32 v19, s22
	s_addc_u32 s21, s21, 0
	v_cmp_eq_u32_e32 vcc, s20, v16
	s_waitcnt vmcnt(0) lgkmcnt(0)
	v_and_b32_e32 v18, 0xffff, v17
	v_lshlrev_b64 v[18:19], s18, v[18:19]
	s_add_u32 s18, s18, 8
	s_addc_u32 s19, s19, 0
	v_or_b32_e32 v15, v19, v15
	s_or_b64 s[16:17], vcc, s[16:17]
	v_or_b32_e32 v14, v18, v14
	s_andn2_b64 exec, exec, s[16:17]
	s_cbranch_execnz .LBB1_309
; %bb.310:                              ;   in Loop: Header=BB1_282 Depth=1
	s_or_b64 exec, exec, s[16:17]
.LBB1_311:                              ;   in Loop: Header=BB1_282 Depth=1
	s_or_b64 exec, exec, s[14:15]
	s_mov_b32 s14, 0
                                        ; implicit-def: $vgpr16
.LBB1_312:                              ;   in Loop: Header=BB1_282 Depth=1
	s_or_saveexec_b64 s[4:5], s[4:5]
	v_mov_b32_e32 v18, s14
	s_xor_b64 exec, exec, s[4:5]
	s_cbranch_execz .LBB1_314
; %bb.313:                              ;   in Loop: Header=BB1_282 Depth=1
	flat_load_dwordx2 v[14:15], v[6:7]
	v_add_u32_e32 v18, -8, v16
	v_add_co_u32_e32 v6, vcc, 8, v6
	v_addc_co_u32_e32 v7, vcc, 0, v7, vcc
	s_waitcnt vmcnt(0) lgkmcnt(0)
	v_and_b32_e32 v16, 0xff, v15
	v_and_b32_e32 v17, 0xff00, v15
	;; [unrolled: 1-line block ×4, first 2 shown]
	v_or_b32_e32 v16, v16, v17
	v_or3_b32 v14, v14, 0, 0
	v_or3_b32 v15, v16, v19, v15
.LBB1_314:                              ;   in Loop: Header=BB1_282 Depth=1
	s_or_b64 exec, exec, s[4:5]
	v_cmp_gt_u32_e32 vcc, 8, v18
                                        ; implicit-def: $sgpr14
	s_and_saveexec_b64 s[4:5], vcc
	s_xor_b64 s[4:5], exec, s[4:5]
	s_cbranch_execz .LBB1_320
; %bb.315:                              ;   in Loop: Header=BB1_282 Depth=1
	v_cmp_ne_u32_e32 vcc, 0, v18
	v_pk_mov_b32 v[16:17], 0, 0
	s_and_saveexec_b64 s[14:15], vcc
	s_cbranch_execz .LBB1_319
; %bb.316:                              ;   in Loop: Header=BB1_282 Depth=1
	s_mov_b64 s[16:17], 0
	v_pk_mov_b32 v[16:17], 0, 0
	s_mov_b64 s[18:19], 0
	s_mov_b64 s[20:21], 0
.LBB1_317:                              ;   Parent Loop BB1_282 Depth=1
                                        ; =>  This Inner Loop Header: Depth=2
	v_mov_b32_e32 v19, s21
	v_add_co_u32_e32 v20, vcc, s20, v6
	v_addc_co_u32_e32 v21, vcc, v7, v19, vcc
	flat_load_ubyte v19, v[20:21]
	s_add_u32 s20, s20, 1
	v_mov_b32_e32 v21, s22
	s_addc_u32 s21, s21, 0
	v_cmp_eq_u32_e32 vcc, s20, v18
	s_waitcnt vmcnt(0) lgkmcnt(0)
	v_and_b32_e32 v20, 0xffff, v19
	v_lshlrev_b64 v[20:21], s18, v[20:21]
	s_add_u32 s18, s18, 8
	s_addc_u32 s19, s19, 0
	v_or_b32_e32 v17, v21, v17
	s_or_b64 s[16:17], vcc, s[16:17]
	v_or_b32_e32 v16, v20, v16
	s_andn2_b64 exec, exec, s[16:17]
	s_cbranch_execnz .LBB1_317
; %bb.318:                              ;   in Loop: Header=BB1_282 Depth=1
	s_or_b64 exec, exec, s[16:17]
.LBB1_319:                              ;   in Loop: Header=BB1_282 Depth=1
	s_or_b64 exec, exec, s[14:15]
	s_mov_b32 s14, 0
                                        ; implicit-def: $vgpr18
.LBB1_320:                              ;   in Loop: Header=BB1_282 Depth=1
	s_or_saveexec_b64 s[4:5], s[4:5]
	v_mov_b32_e32 v20, s14
	s_xor_b64 exec, exec, s[4:5]
	s_cbranch_execz .LBB1_322
; %bb.321:                              ;   in Loop: Header=BB1_282 Depth=1
	flat_load_dwordx2 v[16:17], v[6:7]
	v_add_u32_e32 v20, -8, v18
	v_add_co_u32_e32 v6, vcc, 8, v6
	v_addc_co_u32_e32 v7, vcc, 0, v7, vcc
	s_waitcnt vmcnt(0) lgkmcnt(0)
	v_and_b32_e32 v18, 0xff, v17
	v_and_b32_e32 v19, 0xff00, v17
	;; [unrolled: 1-line block ×4, first 2 shown]
	v_or_b32_e32 v18, v18, v19
	v_or3_b32 v16, v16, 0, 0
	v_or3_b32 v17, v18, v21, v17
.LBB1_322:                              ;   in Loop: Header=BB1_282 Depth=1
	s_or_b64 exec, exec, s[4:5]
	v_cmp_gt_u32_e32 vcc, 8, v20
                                        ; implicit-def: $vgpr18_vgpr19
                                        ; implicit-def: $sgpr14
	s_and_saveexec_b64 s[4:5], vcc
	s_xor_b64 s[4:5], exec, s[4:5]
	s_cbranch_execz .LBB1_328
; %bb.323:                              ;   in Loop: Header=BB1_282 Depth=1
	v_cmp_ne_u32_e32 vcc, 0, v20
	v_pk_mov_b32 v[18:19], 0, 0
	s_and_saveexec_b64 s[14:15], vcc
	s_cbranch_execz .LBB1_327
; %bb.324:                              ;   in Loop: Header=BB1_282 Depth=1
	s_mov_b64 s[16:17], 0
	v_pk_mov_b32 v[18:19], 0, 0
	s_mov_b64 s[18:19], 0
	s_mov_b64 s[20:21], 0
.LBB1_325:                              ;   Parent Loop BB1_282 Depth=1
                                        ; =>  This Inner Loop Header: Depth=2
	v_mov_b32_e32 v21, s21
	v_add_co_u32_e32 v22, vcc, s20, v6
	v_addc_co_u32_e32 v23, vcc, v7, v21, vcc
	flat_load_ubyte v21, v[22:23]
	s_add_u32 s20, s20, 1
	v_mov_b32_e32 v23, s22
	s_addc_u32 s21, s21, 0
	v_cmp_eq_u32_e32 vcc, s20, v20
	s_waitcnt vmcnt(0) lgkmcnt(0)
	v_and_b32_e32 v22, 0xffff, v21
	v_lshlrev_b64 v[22:23], s18, v[22:23]
	s_add_u32 s18, s18, 8
	s_addc_u32 s19, s19, 0
	v_or_b32_e32 v19, v23, v19
	s_or_b64 s[16:17], vcc, s[16:17]
	v_or_b32_e32 v18, v22, v18
	s_andn2_b64 exec, exec, s[16:17]
	s_cbranch_execnz .LBB1_325
; %bb.326:                              ;   in Loop: Header=BB1_282 Depth=1
	s_or_b64 exec, exec, s[16:17]
.LBB1_327:                              ;   in Loop: Header=BB1_282 Depth=1
	s_or_b64 exec, exec, s[14:15]
	s_mov_b32 s14, 0
                                        ; implicit-def: $vgpr20
.LBB1_328:                              ;   in Loop: Header=BB1_282 Depth=1
	s_or_saveexec_b64 s[4:5], s[4:5]
	v_mov_b32_e32 v22, s14
	s_xor_b64 exec, exec, s[4:5]
	s_cbranch_execz .LBB1_330
; %bb.329:                              ;   in Loop: Header=BB1_282 Depth=1
	flat_load_dwordx2 v[18:19], v[6:7]
	v_add_u32_e32 v22, -8, v20
	v_add_co_u32_e32 v6, vcc, 8, v6
	v_addc_co_u32_e32 v7, vcc, 0, v7, vcc
	s_waitcnt vmcnt(0) lgkmcnt(0)
	v_and_b32_e32 v20, 0xff, v19
	v_and_b32_e32 v21, 0xff00, v19
	;; [unrolled: 1-line block ×4, first 2 shown]
	v_or_b32_e32 v20, v20, v21
	v_or3_b32 v18, v18, 0, 0
	v_or3_b32 v19, v20, v23, v19
.LBB1_330:                              ;   in Loop: Header=BB1_282 Depth=1
	s_or_b64 exec, exec, s[4:5]
	v_cmp_gt_u32_e32 vcc, 8, v22
	s_and_saveexec_b64 s[4:5], vcc
	s_xor_b64 s[4:5], exec, s[4:5]
	s_cbranch_execz .LBB1_336
; %bb.331:                              ;   in Loop: Header=BB1_282 Depth=1
	v_cmp_ne_u32_e32 vcc, 0, v22
	v_pk_mov_b32 v[20:21], 0, 0
	s_and_saveexec_b64 s[14:15], vcc
	s_cbranch_execz .LBB1_335
; %bb.332:                              ;   in Loop: Header=BB1_282 Depth=1
	s_mov_b64 s[16:17], 0
	v_pk_mov_b32 v[20:21], 0, 0
	s_mov_b64 s[18:19], 0
.LBB1_333:                              ;   Parent Loop BB1_282 Depth=1
                                        ; =>  This Inner Loop Header: Depth=2
	flat_load_ubyte v23, v[6:7]
	v_mov_b32_e32 v25, s22
	v_add_co_u32_e32 v6, vcc, 1, v6
	v_add_u32_e32 v22, -1, v22
	v_addc_co_u32_e32 v7, vcc, 0, v7, vcc
	v_cmp_eq_u32_e32 vcc, 0, v22
	s_waitcnt vmcnt(0) lgkmcnt(0)
	v_and_b32_e32 v24, 0xffff, v23
	v_lshlrev_b64 v[24:25], s18, v[24:25]
	s_add_u32 s18, s18, 8
	s_addc_u32 s19, s19, 0
	v_or_b32_e32 v21, v25, v21
	s_or_b64 s[16:17], vcc, s[16:17]
	v_or_b32_e32 v20, v24, v20
	s_andn2_b64 exec, exec, s[16:17]
	s_cbranch_execnz .LBB1_333
; %bb.334:                              ;   in Loop: Header=BB1_282 Depth=1
	s_or_b64 exec, exec, s[16:17]
.LBB1_335:                              ;   in Loop: Header=BB1_282 Depth=1
	s_or_b64 exec, exec, s[14:15]
                                        ; implicit-def: $vgpr6_vgpr7
.LBB1_336:                              ;   in Loop: Header=BB1_282 Depth=1
	s_andn2_saveexec_b64 s[4:5], s[4:5]
	s_cbranch_execz .LBB1_338
; %bb.337:                              ;   in Loop: Header=BB1_282 Depth=1
	flat_load_dwordx2 v[6:7], v[6:7]
	s_waitcnt vmcnt(0) lgkmcnt(0)
	v_and_b32_e32 v20, 0xff, v7
	v_and_b32_e32 v21, 0xff00, v7
	;; [unrolled: 1-line block ×4, first 2 shown]
	v_or_b32_e32 v20, v20, v21
	v_or3_b32 v21, v20, v22, v7
	v_or3_b32 v20, v6, 0, 0
.LBB1_338:                              ;   in Loop: Header=BB1_282 Depth=1
	s_or_b64 exec, exec, s[4:5]
	v_readfirstlane_b32 s4, v37
	v_cmp_eq_u32_e64 s[4:5], s4, v37
	v_pk_mov_b32 v[6:7], 0, 0
	s_and_saveexec_b64 s[14:15], s[4:5]
	s_cbranch_execz .LBB1_344
; %bb.339:                              ;   in Loop: Header=BB1_282 Depth=1
	global_load_dwordx2 v[24:25], v31, s[10:11] offset:24 glc
	s_waitcnt vmcnt(0)
	buffer_invl2
	buffer_wbinvl1_vol
	global_load_dwordx2 v[6:7], v31, s[10:11] offset:40
	global_load_dwordx2 v[22:23], v31, s[10:11]
	s_waitcnt vmcnt(1)
	v_and_b32_e32 v6, v6, v24
	v_and_b32_e32 v7, v7, v25
	v_mul_lo_u32 v7, v7, 24
	v_mul_hi_u32 v29, v6, 24
	v_mul_lo_u32 v6, v6, 24
	v_add_u32_e32 v7, v29, v7
	s_waitcnt vmcnt(0)
	v_add_co_u32_e32 v6, vcc, v22, v6
	v_addc_co_u32_e32 v7, vcc, v23, v7, vcc
	global_load_dwordx2 v[22:23], v[6:7], off glc
	s_waitcnt vmcnt(0)
	global_atomic_cmpswap_x2 v[6:7], v31, v[22:25], s[10:11] offset:24 glc
	s_waitcnt vmcnt(0)
	buffer_invl2
	buffer_wbinvl1_vol
	v_cmp_ne_u64_e32 vcc, v[6:7], v[24:25]
	s_and_saveexec_b64 s[16:17], vcc
	s_cbranch_execz .LBB1_343
; %bb.340:                              ;   in Loop: Header=BB1_282 Depth=1
	s_mov_b64 s[18:19], 0
.LBB1_341:                              ;   Parent Loop BB1_282 Depth=1
                                        ; =>  This Inner Loop Header: Depth=2
	s_sleep 1
	global_load_dwordx2 v[22:23], v31, s[10:11] offset:40
	global_load_dwordx2 v[34:35], v31, s[10:11]
	v_pk_mov_b32 v[24:25], v[6:7], v[6:7] op_sel:[0,1]
	s_waitcnt vmcnt(1)
	v_and_b32_e32 v6, v22, v24
	s_waitcnt vmcnt(0)
	v_mad_u64_u32 v[6:7], s[20:21], v6, 24, v[34:35]
	v_and_b32_e32 v23, v23, v25
	v_mov_b32_e32 v22, v7
	v_mad_u64_u32 v[22:23], s[20:21], v23, 24, v[22:23]
	v_mov_b32_e32 v7, v22
	global_load_dwordx2 v[22:23], v[6:7], off glc
	s_waitcnt vmcnt(0)
	global_atomic_cmpswap_x2 v[6:7], v31, v[22:25], s[10:11] offset:24 glc
	s_waitcnt vmcnt(0)
	buffer_invl2
	buffer_wbinvl1_vol
	v_cmp_eq_u64_e32 vcc, v[6:7], v[24:25]
	s_or_b64 s[18:19], vcc, s[18:19]
	s_andn2_b64 exec, exec, s[18:19]
	s_cbranch_execnz .LBB1_341
; %bb.342:                              ;   in Loop: Header=BB1_282 Depth=1
	s_or_b64 exec, exec, s[18:19]
.LBB1_343:                              ;   in Loop: Header=BB1_282 Depth=1
	s_or_b64 exec, exec, s[16:17]
.LBB1_344:                              ;   in Loop: Header=BB1_282 Depth=1
	s_or_b64 exec, exec, s[14:15]
	global_load_dwordx2 v[34:35], v31, s[10:11] offset:40
	global_load_dwordx4 v[22:25], v31, s[10:11]
	v_readfirstlane_b32 s14, v6
	v_readfirstlane_b32 s15, v7
	s_mov_b64 s[16:17], exec
	s_waitcnt vmcnt(1)
	v_readfirstlane_b32 s18, v34
	v_readfirstlane_b32 s19, v35
	s_and_b64 s[18:19], s[14:15], s[18:19]
	s_mul_i32 s20, s19, 24
	s_mul_hi_u32 s21, s18, 24
	s_mul_i32 s24, s18, 24
	s_add_i32 s20, s21, s20
	v_mov_b32_e32 v6, s20
	s_waitcnt vmcnt(0)
	v_add_co_u32_e32 v34, vcc, s24, v22
	v_addc_co_u32_e32 v35, vcc, v23, v6, vcc
	s_and_saveexec_b64 s[20:21], s[4:5]
	s_cbranch_execz .LBB1_346
; %bb.345:                              ;   in Loop: Header=BB1_282 Depth=1
	v_pk_mov_b32 v[6:7], s[16:17], s[16:17] op_sel:[0,1]
	global_store_dwordx4 v[34:35], v[6:9], off offset:8
.LBB1_346:                              ;   in Loop: Header=BB1_282 Depth=1
	s_or_b64 exec, exec, s[20:21]
	s_lshl_b64 s[16:17], s[18:19], 12
	v_mov_b32_e32 v7, s17
	v_add_co_u32_e32 v6, vcc, s16, v24
	v_addc_co_u32_e32 v7, vcc, v25, v7, vcc
	v_or_b32_e32 v24, 0, v1
	v_cmp_lt_u64_e32 vcc, 56, v[26:27]
	v_or_b32_e32 v25, v0, v28
	v_cndmask_b32_e32 v1, v24, v1, vcc
	v_lshl_add_u32 v24, v32, 2, 28
	v_cndmask_b32_e32 v0, v25, v0, vcc
	v_and_b32_e32 v24, 0x1e0, v24
	v_and_or_b32 v0, v0, s23, v24
	v_readfirstlane_b32 s16, v6
	v_readfirstlane_b32 s17, v7
	s_nop 4
	global_store_dwordx4 v36, v[0:3], s[16:17]
	global_store_dwordx4 v36, v[10:13], s[16:17] offset:16
	global_store_dwordx4 v36, v[14:17], s[16:17] offset:32
	;; [unrolled: 1-line block ×3, first 2 shown]
	s_and_saveexec_b64 s[16:17], s[4:5]
	s_cbranch_execz .LBB1_354
; %bb.347:                              ;   in Loop: Header=BB1_282 Depth=1
	global_load_dwordx2 v[14:15], v31, s[10:11] offset:32 glc
	global_load_dwordx2 v[0:1], v31, s[10:11] offset:40
	v_mov_b32_e32 v12, s14
	v_mov_b32_e32 v13, s15
	s_waitcnt vmcnt(0)
	v_readfirstlane_b32 s18, v0
	v_readfirstlane_b32 s19, v1
	s_and_b64 s[18:19], s[18:19], s[14:15]
	s_mul_i32 s19, s19, 24
	s_mul_hi_u32 s20, s18, 24
	s_mul_i32 s18, s18, 24
	s_add_i32 s19, s20, s19
	v_mov_b32_e32 v0, s19
	v_add_co_u32_e32 v10, vcc, s18, v22
	v_addc_co_u32_e32 v11, vcc, v23, v0, vcc
	global_store_dwordx2 v[10:11], v[14:15], off
	buffer_wbl2
	s_waitcnt vmcnt(0)
	global_atomic_cmpswap_x2 v[2:3], v31, v[12:15], s[10:11] offset:32 glc
	s_waitcnt vmcnt(0)
	v_cmp_ne_u64_e32 vcc, v[2:3], v[14:15]
	s_and_saveexec_b64 s[18:19], vcc
	s_cbranch_execz .LBB1_350
; %bb.348:                              ;   in Loop: Header=BB1_282 Depth=1
	s_mov_b64 s[20:21], 0
.LBB1_349:                              ;   Parent Loop BB1_282 Depth=1
                                        ; =>  This Inner Loop Header: Depth=2
	s_sleep 1
	global_store_dwordx2 v[10:11], v[2:3], off
	v_mov_b32_e32 v0, s14
	v_mov_b32_e32 v1, s15
	buffer_wbl2
	s_waitcnt vmcnt(0)
	global_atomic_cmpswap_x2 v[0:1], v31, v[0:3], s[10:11] offset:32 glc
	s_waitcnt vmcnt(0)
	v_cmp_eq_u64_e32 vcc, v[0:1], v[2:3]
	s_or_b64 s[20:21], vcc, s[20:21]
	v_pk_mov_b32 v[2:3], v[0:1], v[0:1] op_sel:[0,1]
	s_andn2_b64 exec, exec, s[20:21]
	s_cbranch_execnz .LBB1_349
.LBB1_350:                              ;   in Loop: Header=BB1_282 Depth=1
	s_or_b64 exec, exec, s[18:19]
	global_load_dwordx2 v[0:1], v31, s[10:11] offset:16
	s_mov_b64 s[20:21], exec
	v_mbcnt_lo_u32_b32 v2, s20, 0
	v_mbcnt_hi_u32_b32 v2, s21, v2
	v_cmp_eq_u32_e32 vcc, 0, v2
	s_and_saveexec_b64 s[18:19], vcc
	s_cbranch_execz .LBB1_352
; %bb.351:                              ;   in Loop: Header=BB1_282 Depth=1
	s_bcnt1_i32_b64 s20, s[20:21]
	v_mov_b32_e32 v30, s20
	buffer_wbl2
	s_waitcnt vmcnt(0)
	global_atomic_add_x2 v[0:1], v[30:31], off offset:8
.LBB1_352:                              ;   in Loop: Header=BB1_282 Depth=1
	s_or_b64 exec, exec, s[18:19]
	s_waitcnt vmcnt(0)
	global_load_dwordx2 v[2:3], v[0:1], off offset:16
	s_waitcnt vmcnt(0)
	v_cmp_eq_u64_e32 vcc, 0, v[2:3]
	s_cbranch_vccnz .LBB1_354
; %bb.353:                              ;   in Loop: Header=BB1_282 Depth=1
	global_load_dword v30, v[0:1], off offset:24
	s_waitcnt vmcnt(0)
	v_and_b32_e32 v0, 0xffffff, v30
	v_readfirstlane_b32 m0, v0
	buffer_wbl2
	global_store_dwordx2 v[2:3], v[30:31], off
	s_sendmsg sendmsg(MSG_INTERRUPT)
.LBB1_354:                              ;   in Loop: Header=BB1_282 Depth=1
	s_or_b64 exec, exec, s[16:17]
	v_add_co_u32_e32 v0, vcc, v6, v36
	v_addc_co_u32_e32 v1, vcc, 0, v7, vcc
	s_branch .LBB1_358
.LBB1_355:                              ;   in Loop: Header=BB1_358 Depth=2
	s_or_b64 exec, exec, s[16:17]
	v_readfirstlane_b32 s16, v2
	s_cmp_eq_u32 s16, 0
	s_cbranch_scc1 .LBB1_357
; %bb.356:                              ;   in Loop: Header=BB1_358 Depth=2
	s_sleep 1
	s_cbranch_execnz .LBB1_358
	s_branch .LBB1_360
.LBB1_357:                              ;   in Loop: Header=BB1_282 Depth=1
	s_branch .LBB1_360
.LBB1_358:                              ;   Parent Loop BB1_282 Depth=1
                                        ; =>  This Inner Loop Header: Depth=2
	v_mov_b32_e32 v2, 1
	s_and_saveexec_b64 s[16:17], s[4:5]
	s_cbranch_execz .LBB1_355
; %bb.359:                              ;   in Loop: Header=BB1_358 Depth=2
	global_load_dword v2, v[34:35], off offset:20 glc
	s_waitcnt vmcnt(0)
	buffer_invl2
	buffer_wbinvl1_vol
	v_and_b32_e32 v2, 1, v2
	s_branch .LBB1_355
.LBB1_360:                              ;   in Loop: Header=BB1_282 Depth=1
	global_load_dwordx4 v[0:3], v[0:1], off
	s_and_saveexec_b64 s[16:17], s[4:5]
	s_cbranch_execz .LBB1_281
; %bb.361:                              ;   in Loop: Header=BB1_282 Depth=1
	global_load_dwordx2 v[2:3], v31, s[10:11] offset:40
	global_load_dwordx2 v[6:7], v31, s[10:11] offset:24 glc
	global_load_dwordx2 v[14:15], v31, s[10:11]
	v_mov_b32_e32 v11, s15
	s_waitcnt vmcnt(2)
	v_add_co_u32_e32 v13, vcc, 1, v2
	v_addc_co_u32_e32 v16, vcc, 0, v3, vcc
	v_add_co_u32_e32 v10, vcc, s14, v13
	v_addc_co_u32_e32 v11, vcc, v16, v11, vcc
	v_cmp_eq_u64_e32 vcc, 0, v[10:11]
	v_cndmask_b32_e32 v11, v11, v16, vcc
	v_cndmask_b32_e32 v10, v10, v13, vcc
	v_and_b32_e32 v3, v11, v3
	v_and_b32_e32 v2, v10, v2
	v_mul_lo_u32 v3, v3, 24
	v_mul_hi_u32 v13, v2, 24
	v_mul_lo_u32 v2, v2, 24
	v_add_u32_e32 v3, v13, v3
	s_waitcnt vmcnt(0)
	v_add_co_u32_e32 v2, vcc, v14, v2
	v_addc_co_u32_e32 v3, vcc, v15, v3, vcc
	v_mov_b32_e32 v12, v6
	global_store_dwordx2 v[2:3], v[6:7], off
	v_mov_b32_e32 v13, v7
	buffer_wbl2
	s_waitcnt vmcnt(0)
	global_atomic_cmpswap_x2 v[12:13], v31, v[10:13], s[10:11] offset:24 glc
	s_waitcnt vmcnt(0)
	v_cmp_ne_u64_e32 vcc, v[12:13], v[6:7]
	s_and_b64 exec, exec, vcc
	s_cbranch_execz .LBB1_281
; %bb.362:                              ;   in Loop: Header=BB1_282 Depth=1
	s_mov_b64 s[4:5], 0
.LBB1_363:                              ;   Parent Loop BB1_282 Depth=1
                                        ; =>  This Inner Loop Header: Depth=2
	s_sleep 1
	global_store_dwordx2 v[2:3], v[12:13], off
	buffer_wbl2
	s_waitcnt vmcnt(0)
	global_atomic_cmpswap_x2 v[6:7], v31, v[10:13], s[10:11] offset:24 glc
	s_waitcnt vmcnt(0)
	v_cmp_eq_u64_e32 vcc, v[6:7], v[12:13]
	s_or_b64 s[4:5], vcc, s[4:5]
	v_pk_mov_b32 v[12:13], v[6:7], v[6:7] op_sel:[0,1]
	s_andn2_b64 exec, exec, s[4:5]
	s_cbranch_execnz .LBB1_363
	s_branch .LBB1_281
.LBB1_364:
	s_or_b64 exec, exec, s[6:7]
                                        ; implicit-def: $vgpr36
                                        ; implicit-def: $vgpr37
.LBB1_365:
	s_andn2_saveexec_b64 s[6:7], s[12:13]
	s_cbranch_execz .LBB1_392
; %bb.366:
	v_readfirstlane_b32 s4, v37
	v_cmp_eq_u32_e64 s[4:5], s4, v37
	v_pk_mov_b32 v[8:9], 0, 0
	s_and_saveexec_b64 s[12:13], s[4:5]
	s_cbranch_execz .LBB1_372
; %bb.367:
	s_waitcnt vmcnt(0)
	v_mov_b32_e32 v2, 0
	global_load_dwordx2 v[6:7], v2, s[10:11] offset:24 glc
	s_waitcnt vmcnt(0)
	buffer_invl2
	buffer_wbinvl1_vol
	global_load_dwordx2 v[4:5], v2, s[10:11] offset:40
	global_load_dwordx2 v[8:9], v2, s[10:11]
	s_waitcnt vmcnt(1)
	v_and_b32_e32 v3, v4, v6
	v_and_b32_e32 v4, v5, v7
	v_mul_lo_u32 v4, v4, 24
	v_mul_hi_u32 v5, v3, 24
	v_mul_lo_u32 v3, v3, 24
	v_add_u32_e32 v5, v5, v4
	s_waitcnt vmcnt(0)
	v_add_co_u32_e32 v4, vcc, v8, v3
	v_addc_co_u32_e32 v5, vcc, v9, v5, vcc
	global_load_dwordx2 v[4:5], v[4:5], off glc
	s_waitcnt vmcnt(0)
	global_atomic_cmpswap_x2 v[8:9], v2, v[4:7], s[10:11] offset:24 glc
	s_waitcnt vmcnt(0)
	buffer_invl2
	buffer_wbinvl1_vol
	v_cmp_ne_u64_e32 vcc, v[8:9], v[6:7]
	s_and_saveexec_b64 s[14:15], vcc
	s_cbranch_execz .LBB1_371
; %bb.368:
	s_mov_b64 s[16:17], 0
.LBB1_369:                              ; =>This Inner Loop Header: Depth=1
	s_sleep 1
	global_load_dwordx2 v[4:5], v2, s[10:11] offset:40
	global_load_dwordx2 v[10:11], v2, s[10:11]
	v_pk_mov_b32 v[6:7], v[8:9], v[8:9] op_sel:[0,1]
	s_waitcnt vmcnt(1)
	v_and_b32_e32 v4, v4, v6
	v_and_b32_e32 v3, v5, v7
	s_waitcnt vmcnt(0)
	v_mad_u64_u32 v[4:5], s[18:19], v4, 24, v[10:11]
	v_mov_b32_e32 v8, v5
	v_mad_u64_u32 v[8:9], s[18:19], v3, 24, v[8:9]
	v_mov_b32_e32 v5, v8
	global_load_dwordx2 v[4:5], v[4:5], off glc
	s_waitcnt vmcnt(0)
	global_atomic_cmpswap_x2 v[8:9], v2, v[4:7], s[10:11] offset:24 glc
	s_waitcnt vmcnt(0)
	buffer_invl2
	buffer_wbinvl1_vol
	v_cmp_eq_u64_e32 vcc, v[8:9], v[6:7]
	s_or_b64 s[16:17], vcc, s[16:17]
	s_andn2_b64 exec, exec, s[16:17]
	s_cbranch_execnz .LBB1_369
; %bb.370:
	s_or_b64 exec, exec, s[16:17]
.LBB1_371:
	s_or_b64 exec, exec, s[14:15]
.LBB1_372:
	s_or_b64 exec, exec, s[12:13]
	s_waitcnt vmcnt(0)
	v_mov_b32_e32 v2, 0
	global_load_dwordx2 v[10:11], v2, s[10:11] offset:40
	global_load_dwordx4 v[4:7], v2, s[10:11]
	v_readfirstlane_b32 s12, v8
	v_readfirstlane_b32 s13, v9
	s_mov_b64 s[14:15], exec
	s_waitcnt vmcnt(1)
	v_readfirstlane_b32 s16, v10
	v_readfirstlane_b32 s17, v11
	s_and_b64 s[16:17], s[12:13], s[16:17]
	s_mul_i32 s18, s17, 24
	s_mul_hi_u32 s19, s16, 24
	s_mul_i32 s20, s16, 24
	s_add_i32 s18, s19, s18
	v_mov_b32_e32 v3, s18
	s_waitcnt vmcnt(0)
	v_add_co_u32_e32 v8, vcc, s20, v4
	v_addc_co_u32_e32 v9, vcc, v5, v3, vcc
	s_and_saveexec_b64 s[18:19], s[4:5]
	s_cbranch_execz .LBB1_374
; %bb.373:
	v_pk_mov_b32 v[10:11], s[14:15], s[14:15] op_sel:[0,1]
	v_mov_b32_e32 v12, 2
	v_mov_b32_e32 v13, 1
	global_store_dwordx4 v[8:9], v[10:13], off offset:8
.LBB1_374:
	s_or_b64 exec, exec, s[18:19]
	s_lshl_b64 s[14:15], s[16:17], 12
	v_mov_b32_e32 v3, s15
	v_add_co_u32_e32 v10, vcc, s14, v6
	v_addc_co_u32_e32 v11, vcc, v7, v3, vcc
	s_movk_i32 s14, 0xff1f
	s_mov_b32 s16, 0
	v_and_or_b32 v0, v0, s14, 32
	v_mov_b32_e32 v3, v2
	v_readfirstlane_b32 s14, v10
	v_readfirstlane_b32 s15, v11
	s_mov_b32 s17, s16
	v_add_co_u32_e32 v6, vcc, v10, v36
	s_mov_b32 s18, s16
	s_mov_b32 s19, s16
	s_nop 0
	global_store_dwordx4 v36, v[0:3], s[14:15]
	v_addc_co_u32_e32 v7, vcc, 0, v11, vcc
	v_pk_mov_b32 v[0:1], s[16:17], s[16:17] op_sel:[0,1]
	v_pk_mov_b32 v[2:3], s[18:19], s[18:19] op_sel:[0,1]
	global_store_dwordx4 v36, v[0:3], s[14:15] offset:16
	global_store_dwordx4 v36, v[0:3], s[14:15] offset:32
	;; [unrolled: 1-line block ×3, first 2 shown]
	s_and_saveexec_b64 s[14:15], s[4:5]
	s_cbranch_execz .LBB1_382
; %bb.375:
	v_mov_b32_e32 v10, 0
	global_load_dwordx2 v[14:15], v10, s[10:11] offset:32 glc
	global_load_dwordx2 v[0:1], v10, s[10:11] offset:40
	v_mov_b32_e32 v12, s12
	v_mov_b32_e32 v13, s13
	s_waitcnt vmcnt(0)
	v_readfirstlane_b32 s16, v0
	v_readfirstlane_b32 s17, v1
	s_and_b64 s[16:17], s[16:17], s[12:13]
	s_mul_i32 s17, s17, 24
	s_mul_hi_u32 s18, s16, 24
	s_mul_i32 s16, s16, 24
	s_add_i32 s17, s18, s17
	v_mov_b32_e32 v0, s17
	v_add_co_u32_e32 v4, vcc, s16, v4
	v_addc_co_u32_e32 v5, vcc, v5, v0, vcc
	global_store_dwordx2 v[4:5], v[14:15], off
	buffer_wbl2
	s_waitcnt vmcnt(0)
	global_atomic_cmpswap_x2 v[2:3], v10, v[12:15], s[10:11] offset:32 glc
	s_waitcnt vmcnt(0)
	v_cmp_ne_u64_e32 vcc, v[2:3], v[14:15]
	s_and_saveexec_b64 s[16:17], vcc
	s_cbranch_execz .LBB1_378
; %bb.376:
	s_mov_b64 s[18:19], 0
.LBB1_377:                              ; =>This Inner Loop Header: Depth=1
	s_sleep 1
	global_store_dwordx2 v[4:5], v[2:3], off
	v_mov_b32_e32 v0, s12
	v_mov_b32_e32 v1, s13
	buffer_wbl2
	s_waitcnt vmcnt(0)
	global_atomic_cmpswap_x2 v[0:1], v10, v[0:3], s[10:11] offset:32 glc
	s_waitcnt vmcnt(0)
	v_cmp_eq_u64_e32 vcc, v[0:1], v[2:3]
	s_or_b64 s[18:19], vcc, s[18:19]
	v_pk_mov_b32 v[2:3], v[0:1], v[0:1] op_sel:[0,1]
	s_andn2_b64 exec, exec, s[18:19]
	s_cbranch_execnz .LBB1_377
.LBB1_378:
	s_or_b64 exec, exec, s[16:17]
	v_mov_b32_e32 v3, 0
	global_load_dwordx2 v[0:1], v3, s[10:11] offset:16
	s_mov_b64 s[16:17], exec
	v_mbcnt_lo_u32_b32 v2, s16, 0
	v_mbcnt_hi_u32_b32 v2, s17, v2
	v_cmp_eq_u32_e32 vcc, 0, v2
	s_and_saveexec_b64 s[18:19], vcc
	s_cbranch_execz .LBB1_380
; %bb.379:
	s_bcnt1_i32_b64 s16, s[16:17]
	v_mov_b32_e32 v2, s16
	buffer_wbl2
	s_waitcnt vmcnt(0)
	global_atomic_add_x2 v[0:1], v[2:3], off offset:8
.LBB1_380:
	s_or_b64 exec, exec, s[18:19]
	s_waitcnt vmcnt(0)
	global_load_dwordx2 v[2:3], v[0:1], off offset:16
	s_waitcnt vmcnt(0)
	v_cmp_eq_u64_e32 vcc, 0, v[2:3]
	s_cbranch_vccnz .LBB1_382
; %bb.381:
	global_load_dword v0, v[0:1], off offset:24
	v_mov_b32_e32 v1, 0
	buffer_wbl2
	s_waitcnt vmcnt(0)
	global_store_dwordx2 v[2:3], v[0:1], off
	v_and_b32_e32 v0, 0xffffff, v0
	v_readfirstlane_b32 m0, v0
	s_sendmsg sendmsg(MSG_INTERRUPT)
.LBB1_382:
	s_or_b64 exec, exec, s[14:15]
	s_branch .LBB1_386
.LBB1_383:                              ;   in Loop: Header=BB1_386 Depth=1
	s_or_b64 exec, exec, s[14:15]
	v_readfirstlane_b32 s14, v0
	s_cmp_eq_u32 s14, 0
	s_cbranch_scc1 .LBB1_385
; %bb.384:                              ;   in Loop: Header=BB1_386 Depth=1
	s_sleep 1
	s_cbranch_execnz .LBB1_386
	s_branch .LBB1_388
.LBB1_385:
	s_branch .LBB1_388
.LBB1_386:                              ; =>This Inner Loop Header: Depth=1
	v_mov_b32_e32 v0, 1
	s_and_saveexec_b64 s[14:15], s[4:5]
	s_cbranch_execz .LBB1_383
; %bb.387:                              ;   in Loop: Header=BB1_386 Depth=1
	global_load_dword v0, v[8:9], off offset:20 glc
	s_waitcnt vmcnt(0)
	buffer_invl2
	buffer_wbinvl1_vol
	v_and_b32_e32 v0, 1, v0
	s_branch .LBB1_383
.LBB1_388:
	global_load_dwordx2 v[0:1], v[6:7], off
	s_and_saveexec_b64 s[14:15], s[4:5]
	s_cbranch_execz .LBB1_391
; %bb.389:
	v_mov_b32_e32 v8, 0
	global_load_dwordx2 v[6:7], v8, s[10:11] offset:40
	global_load_dwordx2 v[10:11], v8, s[10:11] offset:24 glc
	global_load_dwordx2 v[12:13], v8, s[10:11]
	v_mov_b32_e32 v3, s13
	s_mov_b64 s[4:5], 0
	s_waitcnt vmcnt(2)
	v_add_co_u32_e32 v5, vcc, 1, v6
	v_addc_co_u32_e32 v9, vcc, 0, v7, vcc
	v_add_co_u32_e32 v2, vcc, s12, v5
	v_addc_co_u32_e32 v3, vcc, v9, v3, vcc
	v_cmp_eq_u64_e32 vcc, 0, v[2:3]
	v_cndmask_b32_e32 v3, v3, v9, vcc
	v_cndmask_b32_e32 v2, v2, v5, vcc
	v_and_b32_e32 v5, v3, v7
	v_and_b32_e32 v6, v2, v6
	v_mul_lo_u32 v5, v5, 24
	v_mul_hi_u32 v7, v6, 24
	v_mul_lo_u32 v6, v6, 24
	v_add_u32_e32 v5, v7, v5
	s_waitcnt vmcnt(0)
	v_add_co_u32_e32 v6, vcc, v12, v6
	v_addc_co_u32_e32 v7, vcc, v13, v5, vcc
	v_mov_b32_e32 v4, v10
	global_store_dwordx2 v[6:7], v[10:11], off
	v_mov_b32_e32 v5, v11
	buffer_wbl2
	s_waitcnt vmcnt(0)
	global_atomic_cmpswap_x2 v[4:5], v8, v[2:5], s[10:11] offset:24 glc
	s_waitcnt vmcnt(0)
	v_cmp_ne_u64_e32 vcc, v[4:5], v[10:11]
	s_and_b64 exec, exec, vcc
	s_cbranch_execz .LBB1_391
.LBB1_390:                              ; =>This Inner Loop Header: Depth=1
	s_sleep 1
	global_store_dwordx2 v[6:7], v[4:5], off
	buffer_wbl2
	s_waitcnt vmcnt(0)
	global_atomic_cmpswap_x2 v[10:11], v8, v[2:5], s[10:11] offset:24 glc
	s_waitcnt vmcnt(0)
	v_cmp_eq_u64_e32 vcc, v[10:11], v[4:5]
	s_or_b64 s[4:5], vcc, s[4:5]
	v_pk_mov_b32 v[4:5], v[10:11], v[10:11] op_sel:[0,1]
	s_andn2_b64 exec, exec, s[4:5]
	s_cbranch_execnz .LBB1_390
.LBB1_391:
	s_or_b64 exec, exec, s[14:15]
.LBB1_392:
	s_or_b64 exec, exec, s[6:7]
	s_getpc_b64 s[4:5]
	s_add_u32 s4, s4, .str.1@rel32@lo+4
	s_addc_u32 s5, s5, .str.1@rel32@hi+12
	s_getpc_b64 s[6:7]
	s_add_u32 s6, s6, .str.1@rel32@lo+32
	s_addc_u32 s7, s7, .str.1@rel32@hi+40
	s_sub_i32 s10, s6, s4
	s_ashr_i32 s11, s10, 31
	s_waitcnt vmcnt(0)
	v_mov_b32_e32 v2, s4
	v_mov_b32_e32 v3, s5
	;; [unrolled: 1-line block ×5, first 2 shown]
	s_getpc_b64 s[6:7]
	s_add_u32 s6, s6, __ockl_fprintf_append_string_n@rel32@lo+4
	s_addc_u32 s7, s7, __ockl_fprintf_append_string_n@rel32@hi+12
	s_swappc_b64 s[30:31], s[6:7]
	s_trap 2
.Lfunc_end1:
	.size	__assert_fail, .Lfunc_end1-__assert_fail
                                        ; -- End function
	.section	.AMDGPU.csdata,"",@progbits
; Function info:
; codeLenInByte = 15360
; NumSgprs: 38
; NumVgprs: 41
; NumAgprs: 0
; TotalNumVgprs: 41
; ScratchSize: 64
; MemoryBound: 0
	.text
	.p2align	2                               ; -- Begin function _ZN12_GLOBAL__N_17runRingIj14FuncSumPostDivIjE11ProtoSimpleILi2ELi2ELi0ELi1ELi0ELi0EELi0ELi0ELi1ELi0EEEviiP15ncclDevWorkColl
	.type	_ZN12_GLOBAL__N_17runRingIj14FuncSumPostDivIjE11ProtoSimpleILi2ELi2ELi0ELi1ELi0ELi0EELi0ELi0ELi1ELi0EEEviiP15ncclDevWorkColl,@function
_ZN12_GLOBAL__N_17runRingIj14FuncSumPostDivIjE11ProtoSimpleILi2ELi2ELi0ELi1ELi0ELi0EELi0ELi0ELi1ELi0EEEviiP15ncclDevWorkColl: ; @_ZN12_GLOBAL__N_17runRingIj14FuncSumPostDivIjE11ProtoSimpleILi2ELi2ELi0ELi1ELi0ELi0EELi0ELi0ELi1ELi0EEEviiP15ncclDevWorkColl
; %bb.0:
	s_waitcnt vmcnt(0) expcnt(0) lgkmcnt(0)
	s_mov_b32 s4, s33
	s_mov_b32 s33, s32
	s_or_saveexec_b64 s[6:7], -1
	buffer_store_dword v63, off, s[0:3], s33 offset:100 ; 4-byte Folded Spill
	s_mov_b64 exec, s[6:7]
	v_writelane_b32 v63, s4, 56
	s_addk_i32 s32, 0x1c00
	buffer_store_dword v40, off, s[0:3], s33 offset:96 ; 4-byte Folded Spill
	buffer_store_dword v41, off, s[0:3], s33 offset:92 ; 4-byte Folded Spill
	;; [unrolled: 1-line block ×24, first 2 shown]
	buffer_store_dword a41, off, s[0:3], s33 ; 4-byte Folded Spill
	v_writelane_b32 v63, s34, 0
	v_writelane_b32 v63, s35, 1
	;; [unrolled: 1-line block ×56, first 2 shown]
	v_mov_b32_e32 v18, v1
	s_trap 2
	flat_load_dword v1, v[2:3]
	ds_read_b32 v6, v0
	v_mov_b32_e32 v44, v0
                                        ; implicit-def: $vgpr4_vgpr5
                                        ; implicit-def: $agpr4_agpr5
                                        ; implicit-def: $vgpr8_vgpr9
	s_waitcnt lgkmcnt(0)
	v_readfirstlane_b32 s72, v6
	s_waitcnt vmcnt(0)
	v_cmp_ne_u32_sdwa s[4:5], v1, v6 src0_sel:BYTE_0 src1_sel:DWORD
	s_and_saveexec_b64 s[6:7], s[4:5]
	s_xor_b64 s[4:5], exec, s[6:7]
	s_cbranch_execz .LBB2_6
; %bb.1:
	v_not_b32_sdwa v0, v1 dst_sel:DWORD dst_unused:UNUSED_PAD src0_sel:BYTE_0
	v_cmp_ne_u32_sdwa s[6:7], v1, v6 src0_sel:BYTE_1 src1_sel:DWORD
                                        ; implicit-def: $vgpr4_vgpr5
                                        ; implicit-def: $agpr4_agpr5
                                        ; implicit-def: $vgpr8_vgpr9
	s_and_saveexec_b64 s[10:11], s[6:7]
	s_xor_b64 s[6:7], exec, s[10:11]
	s_cbranch_execz .LBB2_3
; %bb.2:
	flat_load_dwordx4 v[8:11], v[2:3] offset:72
	flat_load_dwordx2 v[4:5], v[2:3] offset:96
	v_add_u32_e32 v0, v6, v0
	v_ashrrev_i32_e32 v1, 31, v0
	s_waitcnt vmcnt(0) lgkmcnt(0)
	v_mul_lo_u32 v1, v10, v1
	v_mad_u64_u32 v[6:7], s[10:11], v10, v0, v[8:9]
	v_mul_lo_u32 v0, v11, v0
	v_add3_u32 v7, v0, v7, v1
	v_accvgpr_write_b32 a4, v6
	v_lshrrev_b64 v[4:5], 14, v[4:5]
	v_accvgpr_write_b32 a5, v7
	v_pk_mov_b32 v[8:9], v[10:11], v[10:11] op_sel:[0,1]
                                        ; implicit-def: $vgpr1
                                        ; implicit-def: $vgpr0
.LBB2_3:
	s_andn2_saveexec_b64 s[6:7], s[6:7]
	s_cbranch_execz .LBB2_5
; %bb.4:
	flat_load_dwordx4 v[4:7], v[2:3] offset:72
	flat_load_dwordx4 v[8:11], v[2:3] offset:88
	v_add_u32_sdwa v0, v1, v0 dst_sel:DWORD dst_unused:UNUSED_PAD src0_sel:BYTE_1 src1_sel:DWORD
	v_ashrrev_i32_e32 v1, 31, v0
	s_waitcnt vmcnt(0) lgkmcnt(0)
	v_mul_lo_u32 v1, v6, v1
	v_mad_u64_u32 v[4:5], s[10:11], v6, v0, v[4:5]
	v_mul_lo_u32 v0, v7, v0
	v_add3_u32 v5, v0, v5, v1
	v_accvgpr_write_b32 a4, v4
	v_accvgpr_write_b32 a5, v5
	v_lshrrev_b32_e32 v4, 3, v11
.LBB2_5:
	s_or_b64 exec, exec, s[6:7]
.LBB2_6:
	s_andn2_saveexec_b64 s[4:5], s[4:5]
	s_cbranch_execz .LBB2_8
; %bb.7:
	flat_load_dwordx2 v[0:1], v[2:3] offset:96
	flat_load_dwordx2 v[8:9], v[2:3] offset:72
	s_waitcnt vmcnt(0) lgkmcnt(0)
	v_lshlrev_b64 v[4:5], 7, v[0:1]
	v_pk_mov_b32 v[0:1], 0, 0
	v_accvgpr_write_b32 a5, v1
	v_accvgpr_write_b32 a4, v0
.LBB2_8:
	s_or_b64 exec, exec, s[4:5]
	s_trap 2
	ds_read_b64 v[0:1], v0
	s_waitcnt lgkmcnt(0)
	v_cmp_ne_u32_e32 vcc, -1, v0
	v_cndmask_b32_e64 v5, 0, 1, vcc
	v_cmp_ne_u32_e32 vcc, -1, v1
	v_addc_co_u32_e64 v0, s[4:5], 0, v5, vcc
	v_lshlrev_b32_e32 v1, 1, v0
	v_cmp_le_i32_e64 s[4:5], v1, v18
	s_and_saveexec_b64 s[6:7], s[4:5]
	s_xor_b64 s[46:47], exec, s[6:7]
	s_cbranch_execz .LBB2_1266
; %bb.9:
	flat_load_dwordx2 v[14:15], v[2:3] offset:104
	flat_load_dwordx4 v[10:13], v[2:3] offset:16
	flat_load_ushort v7, v[2:3] offset:8
	flat_load_dword v6, v[2:3] offset:4
	s_trap 2
	s_load_dword s4, s[8:9], 0x0
	v_mov_b32_e32 v1, 0
	v_accvgpr_write_b32 a6, v8
	v_accvgpr_write_b32 a7, v9
	v_mov_b32_e32 v62, 4
	s_waitcnt lgkmcnt(0)
	s_cmp_lt_u32 s12, s4
	s_cselect_b32 s4, 12, 18
	s_add_u32 s4, s8, s4
	s_addc_u32 s5, s9, 0
	global_load_ushort v19, v1, s[4:5]
	ds_read_b32 v1, v0
	v_cmp_ge_i32_e64 s[4:5], v44, v5
	s_waitcnt lgkmcnt(0)
	v_readfirstlane_b32 s18, v1
	s_and_saveexec_b64 s[6:7], s[4:5]
	s_cbranch_execz .LBB2_19
; %bb.10:
	v_cmp_le_u32_e64 s[4:5], v0, v44
                                        ; implicit-def: $vgpr62
	s_and_saveexec_b64 s[10:11], s[4:5]
	s_xor_b64 s[4:5], exec, s[10:11]
	s_cbranch_execz .LBB2_16
; %bb.11:
	v_cndmask_b32_e64 v1, 0, 1, vcc
	v_sub_u32_e32 v1, v18, v1
	v_cmp_ge_u32_e32 vcc, v44, v1
                                        ; implicit-def: $sgpr12
	s_and_saveexec_b64 s[10:11], vcc
	s_xor_b64 s[10:11], exec, s[10:11]
; %bb.12:
	s_mov_b32 s12, 16
                                        ; implicit-def: $vgpr0
; %bb.13:
	s_or_saveexec_b64 s[10:11], s[10:11]
	v_mov_b32_e32 v62, s12
	s_xor_b64 exec, exec, s[10:11]
; %bb.14:
	v_sub_u32_e32 v0, v18, v0
	v_cmp_ge_i32_e32 vcc, v44, v0
	v_cndmask_b32_e64 v0, 0, 1, vcc
	v_lshlrev_b32_e32 v62, 5, v0
; %bb.15:
	s_or_b64 exec, exec, s[10:11]
.LBB2_16:
	s_andn2_saveexec_b64 s[4:5], s[4:5]
; %bb.17:
	v_mov_b32_e32 v62, 8
; %bb.18:
	s_or_b64 exec, exec, s[4:5]
.LBB2_19:
	s_or_b64 exec, exec, s[6:7]
	v_and_b32_e32 v0, 36, v62
	v_cmp_ne_u32_e32 vcc, 0, v0
	v_mov_b32_e32 v8, -1
	s_and_saveexec_b64 s[4:5], vcc
	s_cbranch_execz .LBB2_21
; %bb.20:
	s_trap 2
	ds_read_b32 v8, v0
.LBB2_21:
	s_or_b64 exec, exec, s[4:5]
	v_and_b32_e32 v0, 24, v62
	v_cmp_ne_u32_e64 s[4:5], 0, v0
	s_and_saveexec_b64 s[6:7], s[4:5]
	s_cbranch_execz .LBB2_23
; %bb.22:
	s_trap 2
	s_waitcnt lgkmcnt(0)
	ds_read_b32 v8, v0
.LBB2_23:
	s_or_b64 exec, exec, s[6:7]
	s_waitcnt vmcnt(0)
	v_lshrrev_b64 v[0:1], 31, v[6:7]
	v_pk_mov_b32 v[20:21], 0, 0
	v_and_b32_e32 v0, 3, v0
	v_pk_mov_b32 v[38:39], v[20:21], v[20:21] op_sel:[0,1]
                                        ; implicit-def: $agpr8_agpr9
                                        ; implicit-def: $vgpr30
                                        ; implicit-def: $vgpr32_vgpr33
                                        ; implicit-def: $vgpr36_vgpr37
                                        ; implicit-def: $vgpr50_vgpr51
                                        ; implicit-def: $vgpr34_vgpr35
	s_and_saveexec_b64 s[4:5], vcc
	s_cbranch_execz .LBB2_33
; %bb.24:
	s_trap 2
	ds_read_b64 v[6:7], v0
	s_waitcnt lgkmcnt(1)
	v_ashrrev_i32_e32 v9, 31, v8
	v_lshlrev_b64 v[16:17], 3, v[8:9]
	v_and_b32_e32 v1, 0xffff, v0
	s_movk_i32 s6, 0xa8
	s_waitcnt lgkmcnt(0)
	v_add_co_u32_e32 v6, vcc, v6, v16
	v_addc_co_u32_e32 v7, vcc, v7, v17, vcc
	flat_load_dwordx2 v[6:7], v[6:7]
                                        ; implicit-def: $agpr8_agpr9
	s_waitcnt vmcnt(0) lgkmcnt(0)
	v_mad_u64_u32 v[6:7], s[6:7], v1, s6, v[6:7]
	flat_load_dword v1, v[6:7] offset:640
	v_add_co_u32_e32 v20, vcc, 0x1f8, v6
	v_addc_co_u32_e32 v21, vcc, 0, v7, vcc
	s_waitcnt vmcnt(0) lgkmcnt(0)
	v_cmp_eq_u32_e32 vcc, 1, v1
	s_and_saveexec_b64 s[6:7], vcc
	s_cbranch_execz .LBB2_26
; %bb.25:
	flat_load_dwordx2 v[16:17], v[20:21] offset:144
	v_or_b32_e32 v62, 0x2000, v62
	s_waitcnt vmcnt(0) lgkmcnt(0)
	flat_load_dwordx2 v[6:7], v[16:17]
	s_trap 2
	v_accvgpr_write_b32 a8, v16
	v_accvgpr_write_b32 a9, v17
	s_waitcnt vmcnt(0) lgkmcnt(0)
	ds_write_b64 v0, v[6:7]
	flat_load_dwordx2 v[6:7], v[16:17] offset:8
	s_waitcnt vmcnt(0) lgkmcnt(0)
	ds_write_b64 v0, v[6:7]
	flat_load_dwordx2 v[6:7], v[16:17] offset:16
	s_waitcnt vmcnt(0) lgkmcnt(0)
	ds_write_b64 v0, v[6:7]
.LBB2_26:
	s_or_b64 exec, exec, s[6:7]
	flat_load_dwordx2 v[6:7], v[20:21] offset:104
	v_and_b32_e32 v1, 32, v62
                                        ; implicit-def: $vgpr34_vgpr35
	s_waitcnt vmcnt(0) lgkmcnt(0)
	v_add_co_u32_e32 v6, vcc, 3, v6
	v_addc_co_u32_e32 v33, vcc, 0, v7, vcc
	v_and_b32_e32 v32, -4, v6
	v_cmp_ne_u32_e32 vcc, 0, v1
	s_and_saveexec_b64 s[6:7], vcc
	s_cbranch_execz .LBB2_28
; %bb.27:
	flat_load_dwordx2 v[34:35], v[20:21] offset:56
	s_waitcnt vmcnt(0) lgkmcnt(0)
	flat_store_dwordx2 v[34:35], v[32:33]
.LBB2_28:
	s_or_b64 exec, exec, s[6:7]
	v_and_b32_e32 v1, 4, v62
	v_cmp_ne_u32_e32 vcc, 0, v1
	v_pk_mov_b32 v[38:39], 0, 0
                                        ; implicit-def: $vgpr30
                                        ; implicit-def: $vgpr36_vgpr37
                                        ; implicit-def: $vgpr50_vgpr51
	s_and_saveexec_b64 s[6:7], vcc
	s_cbranch_execz .LBB2_32
; %bb.29:
	v_and_b32_e32 v1, 0x800, v62
	v_cmp_eq_u32_e32 vcc, 0, v1
	s_and_saveexec_b64 s[10:11], vcc
	s_cbranch_execz .LBB2_31
; %bb.30:
	s_trap 2
	ds_write_b64 v0, v[20:21]
.LBB2_31:
	s_or_b64 exec, exec, s[10:11]
	flat_load_dwordx2 v[34:35], v[20:21] offset:48
	v_or_b32_e32 v6, 0x100, v62
	s_waitcnt vmcnt(0) lgkmcnt(0)
	flat_load_dwordx2 v[50:51], v[34:35] glc
	flat_load_dword v1, v[20:21] offset:72
	flat_load_dwordx2 v[38:39], v[20:21] offset:96
	flat_load_dwordx2 v[36:37], v[20:21] offset:16
	s_waitcnt vmcnt(0) lgkmcnt(0)
	v_ashrrev_i32_e32 v30, 2, v1
	v_cmp_eq_u64_e32 vcc, 0, v[38:39]
	v_cndmask_b32_e32 v62, v6, v62, vcc
.LBB2_32:
	s_or_b64 exec, exec, s[6:7]
.LBB2_33:
	s_or_b64 exec, exec, s[4:5]
	v_and_b32_e32 v1, 24, v62
	v_cmp_ne_u32_e32 vcc, 0, v1
                                        ; implicit-def: $vgpr46_vgpr47
	s_and_saveexec_b64 s[4:5], vcc
	s_cbranch_execz .LBB2_41
; %bb.34:
	s_trap 2
	ds_read_b64 v[6:7], v0
	s_waitcnt lgkmcnt(0)
	v_ashrrev_i32_e32 v9, 31, v8
	v_lshlrev_b64 v[8:9], 3, v[8:9]
	v_and_b32_e32 v0, 0xffff, v0
	s_movk_i32 s6, 0xa8
	v_add_co_u32_e32 v6, vcc, v6, v8
	v_addc_co_u32_e32 v7, vcc, v7, v9, vcc
	flat_load_dwordx2 v[6:7], v[6:7]
                                        ; implicit-def: $vgpr46_vgpr47
	s_waitcnt vmcnt(0) lgkmcnt(0)
	v_mad_u64_u32 v[20:21], s[6:7], v0, s6, v[6:7]
	flat_load_dwordx4 v[38:41], v[20:21] offset:96
	v_or_b32_e32 v0, 0x100, v62
	s_waitcnt vmcnt(0) lgkmcnt(0)
	v_cmp_eq_u64_e32 vcc, 0, v[38:39]
	v_cndmask_b32_e32 v62, v0, v62, vcc
	v_and_b32_e32 v0, 16, v62
	v_cmp_ne_u32_e32 vcc, 0, v0
	s_and_saveexec_b64 s[6:7], vcc
	s_cbranch_execz .LBB2_36
; %bb.35:
	flat_load_dwordx2 v[46:47], v[20:21] offset:120
	flat_load_dwordx2 v[34:35], v[20:21] offset:48
	;; [unrolled: 1-line block ×3, first 2 shown]
.LBB2_36:
	s_or_b64 exec, exec, s[6:7]
	v_add_co_u32_e32 v0, vcc, 3, v40
	v_addc_co_u32_e32 v33, vcc, 0, v41, vcc
	v_and_b32_e32 v32, -4, v0
	v_and_b32_e32 v0, 8, v62
	v_cmp_ne_u32_e32 vcc, 0, v0
	s_and_saveexec_b64 s[6:7], vcc
	s_cbranch_execz .LBB2_40
; %bb.37:
	v_and_b32_e32 v0, 0x800, v62
	v_cmp_eq_u32_e32 vcc, 0, v0
	s_and_saveexec_b64 s[10:11], vcc
	s_cbranch_execz .LBB2_39
; %bb.38:
	s_trap 2
	ds_write_b64 v0, v[20:21]
.LBB2_39:
	s_or_b64 exec, exec, s[10:11]
	s_waitcnt vmcnt(0) lgkmcnt(0)
	flat_load_dwordx2 v[34:35], v[20:21] offset:56
	s_waitcnt vmcnt(0) lgkmcnt(0)
	flat_load_dwordx2 v[50:51], v[34:35] glc
	flat_load_dword v0, v[20:21] offset:72
	flat_load_dwordx2 v[36:37], v[20:21] offset:16
	s_waitcnt vmcnt(0) lgkmcnt(0)
	v_ashrrev_i32_e32 v30, 2, v0
.LBB2_40:
	s_or_b64 exec, exec, s[6:7]
.LBB2_41:
	s_or_b64 exec, exec, s[4:5]
	v_cmp_eq_u32_e64 s[4:5], 0, v44
	s_and_saveexec_b64 s[6:7], s[4:5]
	s_cbranch_execz .LBB2_43
; %bb.42:
	flat_load_dwordx2 v[0:1], v[2:3] offset:32
	v_mov_b32_e32 v6, v12
	v_mov_b32_e32 v7, v13
	s_waitcnt lgkmcnt(0)
	v_mov_b32_e32 v8, v10
	v_mov_b32_e32 v9, v11
	s_waitcnt vmcnt(0)
	ds_write2_b64 v0, v[6:7], v[8:9] offset1:1
	s_trap 2
	ds_write_b64 v0, v[0:1]
	ds_write_b64 v0, v[14:15]
.LBB2_43:
	s_or_b64 exec, exec, s[6:7]
	v_accvgpr_read_b32 v11, a7
	v_accvgpr_read_b32 v10, a6
	s_mov_b64 s[50:51], 0
	v_cmp_lt_i64_e32 vcc, 0, v[10:11]
	v_pk_mov_b32 v[48:49], 0, 0
	s_and_saveexec_b64 s[48:49], vcc
	s_cbranch_execz .LBB2_1230
; %bb.44:
	flat_load_dword v2, v[2:3] offset:4
	s_ashr_i32 s19, s18, 31
	s_lshr_b32 s19, s19, 29
	s_add_i32 s24, s18, s19
	s_ashr_i32 s73, s72, 31
	s_ashr_i32 s25, s24, 5
	s_add_u32 s74, s72, -1
	s_addc_u32 s75, s73, -1
	s_add_i32 s76, s72, s72
	s_not_b32 s27, s72
	v_and_b32_e32 v6, 0xfffff80, v4
	s_cmp_gt_i32 s72, 0
	v_cmp_ge_i32_e32 vcc, v44, v18
	v_and_b32_e32 v0, 63, v31
	v_cmp_eq_u32_e64 s[6:7], 64, v18
	v_cmp_ne_u32_e64 s[10:11], 64, v18
	v_accvgpr_write_b32 a2, v19
	v_cmp_ne_u32_sdwa s[52:53], v19, v18 src0_sel:WORD_0 src1_sel:DWORD
	v_accvgpr_write_b32 a0, v18
	v_lshrrev_b32_e32 v54, 6, v18
	v_ashrrev_i32_e32 v1, 31, v44
	v_mad_i64_i32 v[18:19], s[16:17], v6, s72, 0
	s_cselect_b32 s27, s27, -1
	s_ashr_i32 s24, s24, 31
	v_mov_b32_e32 v52, 0
	v_mov_b32_e32 v3, 0xfffffe00
	;; [unrolled: 1-line block ×3, first 2 shown]
	v_cmp_eq_u32_e64 s[16:17], 0, v0
	v_lshrrev_b32_e32 v0, 26, v1
	s_lshr_b32 s24, s24, 28
	s_movk_i32 s21, 0x200
	s_movk_i32 s26, 0x800
	v_mov_b32_e32 v7, v52
	v_lshl_add_u32 v1, v54, 9, v3
	v_lshl_add_u32 v3, v54, 11, v4
	v_add_u32_e32 v0, v44, v0
	s_add_i32 s77, s27, s76
	s_add_i32 s25, s25, s24
	v_accvgpr_write_b32 a1, v31
	v_accvgpr_write_b32 a31, v7
	v_lshlrev_b32_e32 v42, 10, v54
	v_ashrrev_i32_e32 v4, 31, v1
	s_waitcnt lgkmcnt(0)
	v_ashrrev_i32_e32 v8, 31, v3
	v_ashrrev_i32_e32 v57, 6, v0
	v_and_b32_e32 v0, 0xffffffc0, v0
	v_add_co_u32_e64 v31, s[18:19], s21, v1
	s_ashr_i32 s78, s77, 31
	s_ashr_i32 s79, s25, 4
	v_add_co_u32_e64 v29, s[26:27], s26, v3
	s_movk_i32 s20, 0x400
	v_accvgpr_write_b32 a30, v6
	v_add_u32_e32 v6, 0xfffffc00, v42
	v_addc_co_u32_e64 v1, s[18:19], 0, v4, s[18:19]
	v_sub_u32_e32 v41, v44, v0
	v_sub_u32_e32 v0, 0, v57
	s_cmp_gt_i32 s72, 2
	v_addc_co_u32_e64 v55, s[26:27], 0, v8, s[26:27]
	v_lshlrev_b32_e32 v43, 8, v54
	v_ashrrev_i32_e32 v7, 31, v6
	v_accvgpr_write_b32 a25, v0
	v_add_co_u32_e64 v0, s[18:19], s20, v6
	s_cselect_b64 s[54:55], -1, 0
	s_add_i32 s26, s72, 1
	s_movk_i32 s22, 0x100
	v_add_u32_e32 v40, 0xffffff00, v43
	v_addc_co_u32_e64 v60, s[18:19], 0, v7, s[18:19]
	v_lshlrev_b32_e32 v4, 11, v57
	v_accvgpr_write_b32 a10, v20
	v_lshlrev_b32_e32 v58, 4, v44
	v_ashrrev_i32_e32 v27, 31, v40
	v_add_co_u32_e64 v61, s[18:19], s22, v40
	v_lshl_add_u32 v4, v41, 4, v4
	s_waitcnt vmcnt(0)
	v_and_b32_e32 v2, 1, v2
	v_cmp_eq_u32_e64 s[24:25], 1, v2
	s_xor_b64 s[56:57], s[24:25], -1
	s_cmp_le_i32 s72, s26
	s_cselect_b32 s27, s72, 0
	v_accvgpr_write_b32 a11, v21
	v_ashrrev_i32_e32 v45, 31, v30
	v_ashrrev_i32_e32 v59, 31, v58
	v_addc_co_u32_e64 v28, s[18:19], 0, v27, s[18:19]
	v_cmp_lt_i32_e64 s[20:21], v41, v5
	v_cmp_le_i32_e64 s[22:23], v41, v5
	v_ashrrev_i32_e32 v5, 31, v4
	s_sub_i32 s80, s26, s27
	v_pk_mov_b32 v[20:21], 0, 0
	v_accvgpr_write_b32 a12, v38
	v_accvgpr_write_b32 a14, v46
	;; [unrolled: 1-line block ×4, first 2 shown]
	v_cmp_eq_u64_e64 s[12:13], 0, v[46:47]
	v_cmp_ne_u64_e64 s[14:15], 0, v[46:47]
	v_cmp_gt_i32_e64 s[18:19], 1, v41
	v_accvgpr_write_b32 a26, v4
	v_accvgpr_write_b32 a27, v5
	s_ashr_i32 s81, s80, 31
	s_add_i32 s82, s72, -2
	s_xor_b64 s[58:59], vcc, -1
	s_movk_i32 s83, 0x270e
	v_mov_b32_e32 v26, 1
	s_movk_i32 s84, 0x108
	v_pk_mov_b32 v[48:49], v[20:21], v[20:21] op_sel:[0,1]
	v_accvgpr_write_b32 a3, v44
	v_accvgpr_write_b32 a13, v39
	;; [unrolled: 1-line block ×8, first 2 shown]
	s_trap 2
	s_branch .LBB2_47
.LBB2_45:                               ;   in Loop: Header=BB2_47 Depth=1
	s_or_b64 exec, exec, s[30:31]
.LBB2_46:                               ;   in Loop: Header=BB2_47 Depth=1
	s_or_b64 exec, exec, s[28:29]
	v_add_co_u32_e32 v20, vcc, v20, v18
	v_accvgpr_read_b32 v11, a7
	v_addc_co_u32_e32 v21, vcc, v21, v19, vcc
	v_accvgpr_read_b32 v10, a6
	v_cmp_ge_i64_e32 vcc, v[20:21], v[10:11]
	s_or_b64 s[50:51], vcc, s[50:51]
	s_andn2_b64 exec, exec, s[50:51]
	s_cbranch_execz .LBB2_1229
.LBB2_47:                               ; =>This Loop Header: Depth=1
                                        ;     Child Loop BB2_57 Depth 2
                                        ;       Child Loop BB2_65 Depth 3
                                        ;       Child Loop BB2_89 Depth 3
	;; [unrolled: 1-line block ×9, first 2 shown]
                                        ;     Child Loop BB2_199 Depth 2
                                        ;       Child Loop BB2_205 Depth 3
                                        ;       Child Loop BB2_234 Depth 3
	;; [unrolled: 1-line block ×3, first 2 shown]
                                        ;     Child Loop BB2_271 Depth 2
                                        ;       Child Loop BB2_274 Depth 3
                                        ;         Child Loop BB2_282 Depth 4
                                        ;         Child Loop BB2_310 Depth 4
	;; [unrolled: 1-line block ×9, first 2 shown]
                                        ;       Child Loop BB2_420 Depth 3
                                        ;         Child Loop BB2_426 Depth 4
                                        ;         Child Loop BB2_466 Depth 4
                                        ;         Child Loop BB2_454 Depth 4
                                        ;     Child Loop BB2_496 Depth 2
                                        ;       Child Loop BB2_504 Depth 3
                                        ;       Child Loop BB2_532 Depth 3
	;; [unrolled: 1-line block ×9, first 2 shown]
                                        ;         Child Loop BB2_578 Depth 4
                                        ;       Child Loop BB2_590 Depth 3
                                        ;         Child Loop BB2_591 Depth 4
                                        ;       Child Loop BB2_597 Depth 3
	;; [unrolled: 2-line block ×3, first 2 shown]
                                        ;       Child Loop BB2_664 Depth 3
                                        ;     Child Loop BB2_682 Depth 2
                                        ;       Child Loop BB2_688 Depth 3
                                        ;       Child Loop BB2_720 Depth 3
	;; [unrolled: 1-line block ×3, first 2 shown]
                                        ;     Child Loop BB2_758 Depth 2
                                        ;       Child Loop BB2_761 Depth 3
                                        ;         Child Loop BB2_769 Depth 4
                                        ;         Child Loop BB2_797 Depth 4
	;; [unrolled: 1-line block ×4, first 2 shown]
                                        ;           Child Loop BB2_838 Depth 5
                                        ;         Child Loop BB2_844 Depth 4
                                        ;           Child Loop BB2_845 Depth 5
                                        ;         Child Loop BB2_854 Depth 4
                                        ;         Child Loop BB2_859 Depth 4
                                        ;           Child Loop BB2_860 Depth 5
                                        ;         Child Loop BB2_873 Depth 4
                                        ;         Child Loop BB2_878 Depth 4
	;; [unrolled: 1-line block ×6, first 2 shown]
                                        ;       Child Loop BB2_943 Depth 3
                                        ;         Child Loop BB2_949 Depth 4
                                        ;         Child Loop BB2_981 Depth 4
	;; [unrolled: 1-line block ×3, first 2 shown]
                                        ;     Child Loop BB2_1023 Depth 2
                                        ;       Child Loop BB2_1031 Depth 3
                                        ;       Child Loop BB2_1055 Depth 3
	;; [unrolled: 1-line block ×9, first 2 shown]
                                        ;     Child Loop BB2_1163 Depth 2
                                        ;       Child Loop BB2_1169 Depth 3
                                        ;       Child Loop BB2_1193 Depth 3
	;; [unrolled: 1-line block ×3, first 2 shown]
	v_sub_co_u32_e32 v2, vcc, v10, v20
	v_subb_co_u32_e32 v3, vcc, v11, v21, vcc
	v_accvgpr_write_b32 a33, v3
	v_accvgpr_write_b32 a32, v2
	v_cmp_lt_i64_e32 vcc, v[2:3], v[18:19]
	s_and_saveexec_b64 s[28:29], vcc
	s_cbranch_execz .LBB2_53
; %bb.48:                               ;   in Loop: Header=BB2_47 Depth=1
	v_accvgpr_read_b32 v4, a32
	v_mov_b32_e32 v2, s75
	v_accvgpr_read_b32 v5, a33
	v_add_co_u32_e32 v4, vcc, s74, v4
	v_addc_co_u32_e32 v5, vcc, v2, v5, vcc
	v_or_b32_e32 v53, s73, v5
	v_cmp_ne_u64_e32 vcc, 0, v[52:53]
                                        ; implicit-def: $vgpr2_vgpr3
	s_and_saveexec_b64 s[26:27], vcc
	s_xor_b64 s[30:31], exec, s[26:27]
	s_cbranch_execz .LBB2_50
; %bb.49:                               ;   in Loop: Header=BB2_47 Depth=1
	s_add_u32 s26, s72, s73
	s_mov_b32 s34, s73
	s_mov_b32 s35, s73
	s_addc_u32 s27, s73, s73
	s_xor_b64 s[36:37], s[26:27], s[34:35]
	v_cvt_f32_u32_e32 v2, s36
	v_cvt_f32_u32_e32 v3, s37
	s_sub_u32 s26, 0, s36
	s_subb_u32 s27, 0, s37
	v_mac_f32_e32 v2, 0x4f800000, v3
	v_rcp_f32_e32 v2, v2
	v_mul_f32_e32 v2, 0x5f7ffffc, v2
	v_mul_f32_e32 v3, 0x2f800000, v2
	v_trunc_f32_e32 v3, v3
	v_mac_f32_e32 v2, 0xcf800000, v3
	v_cvt_u32_f32_e32 v3, v3
	v_cvt_u32_f32_e32 v2, v2
	v_mul_lo_u32 v8, s26, v3
	v_mul_hi_u32 v10, s26, v2
	v_mul_lo_u32 v9, s27, v2
	v_add_u32_e32 v8, v10, v8
	v_mul_lo_u32 v11, s26, v2
	v_add_u32_e32 v8, v8, v9
	v_mul_lo_u32 v10, v2, v8
	v_mul_hi_u32 v12, v2, v11
	v_mul_hi_u32 v9, v2, v8
	v_add_co_u32_e32 v10, vcc, v12, v10
	v_addc_co_u32_e32 v9, vcc, 0, v9, vcc
	v_mul_hi_u32 v13, v3, v11
	v_mul_lo_u32 v11, v3, v11
	v_add_co_u32_e32 v10, vcc, v10, v11
	v_mul_hi_u32 v12, v3, v8
	v_addc_co_u32_e32 v9, vcc, v9, v13, vcc
	v_addc_co_u32_e32 v10, vcc, 0, v12, vcc
	v_mul_lo_u32 v8, v3, v8
	v_add_co_u32_e32 v8, vcc, v9, v8
	v_addc_co_u32_e32 v9, vcc, 0, v10, vcc
	v_add_co_u32_e32 v2, vcc, v2, v8
	v_addc_co_u32_e32 v3, vcc, v3, v9, vcc
	v_mul_lo_u32 v8, s26, v3
	v_mul_hi_u32 v9, s26, v2
	v_add_u32_e32 v8, v9, v8
	v_mul_lo_u32 v9, s27, v2
	v_add_u32_e32 v8, v8, v9
	v_mul_lo_u32 v10, s26, v2
	v_mul_hi_u32 v11, v3, v10
	v_mul_lo_u32 v12, v3, v10
	v_mul_lo_u32 v14, v2, v8
	v_mul_hi_u32 v10, v2, v10
	v_mul_hi_u32 v13, v2, v8
	v_add_co_u32_e32 v10, vcc, v10, v14
	v_addc_co_u32_e32 v13, vcc, 0, v13, vcc
	v_add_co_u32_e32 v10, vcc, v10, v12
	v_mul_hi_u32 v9, v3, v8
	v_addc_co_u32_e32 v10, vcc, v13, v11, vcc
	v_addc_co_u32_e32 v9, vcc, 0, v9, vcc
	v_mul_lo_u32 v8, v3, v8
	v_add_co_u32_e32 v8, vcc, v10, v8
	v_addc_co_u32_e32 v9, vcc, 0, v9, vcc
	v_add_co_u32_e32 v8, vcc, v2, v8
	v_addc_co_u32_e32 v9, vcc, v3, v9, vcc
	v_ashrrev_i32_e32 v10, 31, v5
	v_add_co_u32_e32 v2, vcc, v4, v10
	v_addc_co_u32_e32 v3, vcc, v5, v10, vcc
	v_xor_b32_e32 v12, v2, v10
	v_xor_b32_e32 v11, v3, v10
	v_mad_u64_u32 v[2:3], s[26:27], v12, v9, 0
	v_mul_hi_u32 v4, v12, v8
	v_add_co_u32_e32 v13, vcc, v4, v2
	v_addc_co_u32_e32 v14, vcc, 0, v3, vcc
	v_mad_u64_u32 v[4:5], s[26:27], v11, v8, 0
	v_add_co_u32_e32 v4, vcc, v13, v4
	v_mad_u64_u32 v[2:3], s[26:27], v11, v9, 0
	v_addc_co_u32_e32 v4, vcc, v14, v5, vcc
	v_addc_co_u32_e32 v3, vcc, 0, v3, vcc
	v_add_co_u32_e32 v4, vcc, v4, v2
	v_addc_co_u32_e32 v5, vcc, 0, v3, vcc
	v_mul_lo_u32 v8, s37, v4
	v_mul_lo_u32 v9, s36, v5
	v_mad_u64_u32 v[2:3], s[26:27], s36, v4, 0
	v_add3_u32 v3, v3, v9, v8
	v_sub_u32_e32 v8, v11, v3
	v_mov_b32_e32 v9, s37
	v_sub_co_u32_e32 v2, vcc, v12, v2
	v_subb_co_u32_e64 v8, s[26:27], v8, v9, vcc
	v_subrev_co_u32_e64 v9, s[26:27], s36, v2
	v_subbrev_co_u32_e64 v8, s[26:27], 0, v8, s[26:27]
	v_cmp_le_u32_e64 s[26:27], s37, v8
	v_cndmask_b32_e64 v12, 0, -1, s[26:27]
	v_cmp_le_u32_e64 s[26:27], s36, v9
	v_cndmask_b32_e64 v9, 0, -1, s[26:27]
	v_cmp_eq_u32_e64 s[26:27], s37, v8
	v_cndmask_b32_e64 v8, v12, v9, s[26:27]
	v_add_co_u32_e64 v9, s[26:27], 2, v4
	v_subb_co_u32_e32 v3, vcc, v11, v3, vcc
	v_addc_co_u32_e64 v12, s[26:27], 0, v5, s[26:27]
	v_cmp_le_u32_e32 vcc, s37, v3
	v_add_co_u32_e64 v13, s[26:27], 1, v4
	v_cndmask_b32_e64 v11, 0, -1, vcc
	v_cmp_le_u32_e32 vcc, s36, v2
	v_addc_co_u32_e64 v14, s[26:27], 0, v5, s[26:27]
	v_cndmask_b32_e64 v2, 0, -1, vcc
	v_cmp_eq_u32_e32 vcc, s37, v3
	v_cmp_ne_u32_e64 s[26:27], 0, v8
	v_cndmask_b32_e32 v2, v11, v2, vcc
	v_cndmask_b32_e64 v8, v14, v12, s[26:27]
	v_cmp_ne_u32_e32 vcc, 0, v2
	v_cndmask_b32_e64 v3, v13, v9, s[26:27]
	v_cndmask_b32_e32 v2, v5, v8, vcc
	v_cndmask_b32_e32 v3, v4, v3, vcc
	v_xor_b32_e32 v4, s35, v10
	v_xor_b32_e32 v5, s34, v10
	;; [unrolled: 1-line block ×4, first 2 shown]
	v_sub_co_u32_e32 v2, vcc, v2, v5
	v_subb_co_u32_e32 v3, vcc, v8, v4, vcc
                                        ; implicit-def: $vgpr4
.LBB2_50:                               ;   in Loop: Header=BB2_47 Depth=1
	s_andn2_saveexec_b64 s[26:27], s[30:31]
	s_cbranch_execz .LBB2_52
; %bb.51:                               ;   in Loop: Header=BB2_47 Depth=1
	v_cvt_f32_u32_e32 v2, s72
	s_sub_i32 vcc_lo, 0, s72
	v_rcp_iflag_f32_e32 v2, v2
	v_mul_f32_e32 v2, 0x4f7ffffe, v2
	v_cvt_u32_f32_e32 v2, v2
	v_mul_lo_u32 v3, vcc_lo, v2
	v_mul_hi_u32 v3, v2, v3
	v_add_u32_e32 v2, v2, v3
	v_mul_hi_u32 v2, v4, v2
	v_mul_lo_u32 v3, v2, s72
	v_sub_u32_e32 v3, v4, v3
	v_add_u32_e32 v5, 1, v2
	v_subrev_u32_e32 v4, s72, v3
	v_cmp_le_u32_e32 vcc, s72, v3
	v_cndmask_b32_e32 v3, v3, v4, vcc
	v_cndmask_b32_e32 v2, v2, v5, vcc
	v_add_u32_e32 v4, 1, v2
	v_cmp_le_u32_e32 vcc, s72, v3
	v_cndmask_b32_e32 v2, v2, v4, vcc
	v_mov_b32_e32 v3, v52
.LBB2_52:                               ;   in Loop: Header=BB2_47 Depth=1
	s_or_b64 exec, exec, s[26:27]
	v_add_co_u32_e32 v2, vcc, 3, v2
	v_addc_co_u32_e32 v3, vcc, 0, v3, vcc
	v_and_b32_e32 v2, -4, v2
	v_accvgpr_write_b32 a31, v3
	v_accvgpr_write_b32 a30, v2
.LBB2_53:                               ;   in Loop: Header=BB2_47 Depth=1
	s_or_b64 exec, exec, s[28:29]
	v_accvgpr_read_b32 v8, a30
	v_accvgpr_read_b32 v9, a31
	v_mul_lo_u32 v2, v9, s77
	v_mul_lo_u32 v3, v8, s78
	v_mad_u64_u32 v[4:5], s[26:27], v8, s77, 0
	v_add3_u32 v5, v5, v3, v2
	v_accvgpr_read_b32 v2, a4
	v_accvgpr_read_b32 v3, a5
	v_add_co_u32_e32 v2, vcc, v20, v2
	v_addc_co_u32_e32 v3, vcc, v21, v3, vcc
	v_accvgpr_write_b32 a35, v3
	v_accvgpr_write_b32 a34, v2
	v_accvgpr_read_b32 v2, a32
	v_accvgpr_read_b32 v3, a33
	v_sub_co_u32_e32 v2, vcc, v2, v4
	v_subb_co_u32_e32 v3, vcc, v3, v5, vcc
	v_cmp_lt_i64_e32 vcc, v[8:9], v[2:3]
	v_cndmask_b32_e32 v3, v2, v8, vcc
	v_max_i32_e32 v14, 0, v3
	v_add_u32_e32 v2, 31, v14
	v_lshrrev_b32_e32 v2, 1, v2
	v_and_b32_e32 v2, 0x3ffffff0, v2
	v_max_i32_e32 v2, s79, v2
	v_cmp_lt_i32_e32 vcc, 0, v3
	v_mov_b32_e32 v3, 0
	v_mov_b32_e32 v8, 0
	s_and_b64 s[26:27], s[58:59], vcc
	s_mov_b64 s[28:29], exec
	v_accvgpr_write_b32 a29, v21
	s_and_b64 s[26:27], s[28:29], s[26:27]
	v_accvgpr_write_b32 a28, v20
	s_mov_b64 exec, s[26:27]
	s_cbranch_execz .LBB2_195
; %bb.54:                               ;   in Loop: Header=BB2_47 Depth=1
	s_mov_b32 s66, 1
	s_mov_b64 s[34:35], -1
	s_mov_b64 s[30:31], 0
	v_mov_b32_e32 v8, 0
	v_lshlrev_b64 v[10:11], 2, v[4:5]
	s_branch .LBB2_57
.LBB2_55:                               ;   in Loop: Header=BB2_57 Depth=2
	s_or_b64 exec, exec, vcc
	v_add_co_u32_e32 v32, vcc, 2, v32
	v_addc_co_u32_e32 v33, vcc, 0, v33, vcc
	flat_store_dwordx2 v[34:35], v[32:33]
.LBB2_56:                               ;   in Loop: Header=BB2_57 Depth=2
	s_or_b64 exec, exec, s[26:27]
	v_add_u32_e32 v8, v2, v8
	v_cmp_ge_i32_e32 vcc, v8, v14
	s_xor_b64 s[26:27], s[34:35], -1
	s_or_b64 s[26:27], s[26:27], vcc
	s_and_b64 s[26:27], exec, s[26:27]
	s_or_b64 s[30:31], s[26:27], s[30:31]
	s_mov_b64 s[34:35], 0
	v_mov_b32_e32 v3, s66
	s_mov_b32 s66, 2
	s_andn2_b64 exec, exec, s[30:31]
	s_cbranch_execz .LBB2_194
.LBB2_57:                               ;   Parent Loop BB2_47 Depth=1
                                        ; =>  This Loop Header: Depth=2
                                        ;       Child Loop BB2_65 Depth 3
                                        ;       Child Loop BB2_89 Depth 3
	;; [unrolled: 1-line block ×9, first 2 shown]
	s_and_saveexec_b64 s[26:27], s[4:5]
	s_cbranch_execz .LBB2_59
; %bb.58:                               ;   in Loop: Header=BB2_57 Depth=2
	s_trap 2
	ds_read_b64 v[4:5], v0
	v_accvgpr_read_b32 v12, a34
	v_accvgpr_read_b32 v13, a35
	v_lshlrev_b64 v[12:13], 2, v[12:13]
	v_ashrrev_i32_e32 v9, 31, v8
	s_waitcnt lgkmcnt(0)
	v_add_co_u32_e32 v3, vcc, v4, v12
	v_addc_co_u32_e32 v4, vcc, v5, v13, vcc
	v_add_co_u32_e32 v3, vcc, v3, v10
	v_addc_co_u32_e32 v12, vcc, v4, v11, vcc
	v_lshlrev_b64 v[4:5], 2, v[8:9]
	v_add_co_u32_e32 v4, vcc, v3, v4
	v_addc_co_u32_e32 v5, vcc, v12, v5, vcc
	v_mov_b32_e32 v53, v52
	ds_write_b64 v0, v[4:5]
	ds_write_b64 v0, v[52:53]
.LBB2_59:                               ;   in Loop: Header=BB2_57 Depth=2
	s_or_b64 exec, exec, s[26:27]
	v_and_b32_e32 v3, 8, v62
	v_cmp_ne_u32_e32 vcc, 0, v3
	s_mov_b64 s[36:37], -1
	s_and_saveexec_b64 s[26:27], vcc
	s_cbranch_execz .LBB2_71
; %bb.60:                               ;   in Loop: Header=BB2_57 Depth=2
	v_add_co_u32_e32 v12, vcc, 8, v50
	v_addc_co_u32_e32 v13, vcc, 0, v51, vcc
	v_add_co_u32_e32 v4, vcc, 2, v32
	v_addc_co_u32_e32 v5, vcc, 0, v33, vcc
	v_cmp_lt_u64_e32 vcc, v[12:13], v[4:5]
	v_mov_b32_e32 v3, 1
	s_and_saveexec_b64 s[36:37], vcc
	s_cbranch_execz .LBB2_70
; %bb.61:                               ;   in Loop: Header=BB2_57 Depth=2
	s_mov_b64 s[38:39], 0
	v_mov_b32_e32 v3, 0
                                        ; implicit-def: $sgpr40_sgpr41
	s_branch .LBB2_65
.LBB2_62:                               ;   in Loop: Header=BB2_65 Depth=3
	s_or_b64 exec, exec, s[62:63]
	v_mov_b32_e32 v9, 0
	s_orn2_b64 s[60:61], s[60:61], exec
.LBB2_63:                               ;   in Loop: Header=BB2_65 Depth=3
	s_or_b64 exec, exec, s[44:45]
	s_andn2_b64 vcc, s[40:41], exec
	s_and_b64 s[40:41], s[60:61], exec
	s_or_b64 s[40:41], vcc, s[40:41]
	v_mov_b32_e32 v3, v9
.LBB2_64:                               ;   in Loop: Header=BB2_65 Depth=3
	s_or_b64 exec, exec, s[42:43]
	s_waitcnt vmcnt(0) lgkmcnt(0)
	v_add_co_u32_e32 v12, vcc, 8, v50
	v_addc_co_u32_e32 v13, vcc, 0, v51, vcc
	v_cmp_ge_u64_e32 vcc, v[12:13], v[4:5]
	s_xor_b64 s[42:43], s[40:41], -1
	s_or_b64 vcc, s[42:43], vcc
	s_and_b64 vcc, exec, vcc
	s_or_b64 s[38:39], vcc, s[38:39]
	s_andn2_b64 exec, exec, s[38:39]
	s_cbranch_execz .LBB2_69
.LBB2_65:                               ;   Parent Loop BB2_47 Depth=1
                                        ;     Parent Loop BB2_57 Depth=2
                                        ; =>    This Inner Loop Header: Depth=3
	s_sleep 1
	flat_load_dwordx2 v[50:51], v[34:35] glc
	v_and_b32_e32 v9, 64, v62
	v_cmp_eq_u32_e32 vcc, 0, v9
	s_andn2_b64 s[40:41], s[40:41], exec
	s_and_saveexec_b64 s[42:43], vcc
	s_cbranch_execz .LBB2_64
; %bb.66:                               ;   in Loop: Header=BB2_65 Depth=3
	v_add_u32_e32 v9, 1, v3
	v_cmp_lt_i32_e32 vcc, s83, v3
	s_mov_b64 s[60:61], -1
	s_and_saveexec_b64 s[44:45], vcc
	s_cbranch_execz .LBB2_63
; %bb.67:                               ;   in Loop: Header=BB2_65 Depth=3
	s_trap 2
	ds_read_b64 v[12:13], v0
	s_waitcnt vmcnt(0) lgkmcnt(0)
	flat_load_dword v3, v[12:13] glc
	s_waitcnt vmcnt(0) lgkmcnt(0)
	buffer_invl2
	buffer_wbinvl1_vol
	v_cmp_ne_u32_e32 vcc, 0, v3
	s_and_saveexec_b64 s[62:63], vcc
	s_cbranch_execz .LBB2_62
; %bb.68:                               ;   in Loop: Header=BB2_65 Depth=3
	v_or_b32_e32 v62, 64, v62
	s_xor_b64 s[60:61], exec, -1
	ds_write_b32 v0, v3
	s_trap 2
	s_branch .LBB2_62
.LBB2_69:                               ;   in Loop: Header=BB2_57 Depth=2
	s_or_b64 exec, exec, s[38:39]
	v_and_b32_e32 v3, 8, v62
.LBB2_70:                               ;   in Loop: Header=BB2_57 Depth=2
	s_or_b64 exec, exec, s[36:37]
	v_cmp_eq_u32_e32 vcc, 0, v3
	s_orn2_b64 s[36:37], vcc, exec
	;;#ASMSTART
	s_wakeup
	;;#ASMEND
.LBB2_71:                               ;   in Loop: Header=BB2_57 Depth=2
	s_or_b64 exec, exec, s[26:27]
	v_sub_u32_e32 v3, v14, v8
	s_xor_b64 s[26:27], s[36:37], -1
	v_min_i32_e32 v2, v2, v3
	s_and_saveexec_b64 s[36:37], s[26:27]
	s_cbranch_execz .LBB2_81
; %bb.72:                               ;   in Loop: Header=BB2_57 Depth=2
	v_and_b32_e32 v3, 0x100, v62
	v_cmp_ne_u32_e32 vcc, 0, v3
	v_and_b32_e32 v9, 7, v32
	s_mov_b64 s[26:27], -1
                                        ; implicit-def: $vgpr4_vgpr5
	s_and_saveexec_b64 s[38:39], vcc
	s_cbranch_execz .LBB2_76
; %bb.73:                               ;   in Loop: Header=BB2_57 Depth=2
	v_mad_u64_u32 v[12:13], s[26:27], v9, 24, v[38:39]
	flat_load_dword v15, v[12:13]
	v_ashrrev_i32_e32 v3, 31, v2
	v_lshlrev_b64 v[4:5], 2, v[2:3]
	flat_store_dwordx2 v[12:13], v[4:5] offset:8
                                        ; implicit-def: $vgpr4_vgpr5
	s_waitcnt vmcnt(0) lgkmcnt(0)
	v_cmp_ne_u32_e32 vcc, 1, v15
	v_cmp_eq_u32_e64 s[26:27], 1, v15
	s_and_saveexec_b64 s[40:41], s[26:27]
	s_cbranch_execz .LBB2_75
; %bb.74:                               ;   in Loop: Header=BB2_57 Depth=2
	flat_load_dword v4, v[12:13] offset:4 glc
	s_waitcnt vmcnt(0) lgkmcnt(0)
	v_ashrrev_i32_e32 v5, 31, v4
	v_lshrrev_b64 v[4:5], 2, v[4:5]
.LBB2_75:                               ;   in Loop: Header=BB2_57 Depth=2
	s_or_b64 exec, exec, s[40:41]
	s_orn2_b64 s[26:27], vcc, exec
.LBB2_76:                               ;   in Loop: Header=BB2_57 Depth=2
	s_or_b64 exec, exec, s[38:39]
	s_and_saveexec_b64 vcc, s[26:27]
; %bb.77:                               ;   in Loop: Header=BB2_57 Depth=2
	v_mad_i64_i32 v[4:5], s[26:27], v9, v30, 0
; %bb.78:                               ;   in Loop: Header=BB2_57 Depth=2
	s_or_b64 exec, exec, vcc
	v_lshlrev_b64 v[4:5], 2, v[4:5]
	v_add_co_u32_e32 v4, vcc, v36, v4
	v_addc_co_u32_e32 v5, vcc, v37, v5, vcc
	v_and_b32_e32 v3, 0x2000, v62
	v_cmp_ne_u32_e32 vcc, 0, v3
	ds_write_b64 v0, v[4:5] offset:784
	s_and_saveexec_b64 s[26:27], vcc
	s_cbranch_execz .LBB2_80
; %bb.79:                               ;   in Loop: Header=BB2_57 Depth=2
	ds_read_b64 v[4:5], v0 offset:584
	s_waitcnt lgkmcnt(0)
	v_add_co_u32_e32 v4, vcc, 1, v4
	v_addc_co_u32_e32 v5, vcc, 0, v5, vcc
	ds_write_b64 v0, v[4:5] offset:584
.LBB2_80:                               ;   in Loop: Header=BB2_57 Depth=2
	s_or_b64 exec, exec, s[26:27]
	v_add_co_u32_e32 v32, vcc, 2, v32
	v_addc_co_u32_e32 v33, vcc, 0, v33, vcc
.LBB2_81:                               ;   in Loop: Header=BB2_57 Depth=2
	s_or_b64 exec, exec, s[36:37]
	s_and_saveexec_b64 s[26:27], s[10:11]
	s_cbranch_execz .LBB2_100
; %bb.82:                               ;   in Loop: Header=BB2_57 Depth=2
	s_and_saveexec_b64 vcc, s[52:53]
	s_xor_b64 s[36:37], exec, vcc
	s_cbranch_execz .LBB2_97
; %bb.83:                               ;   in Loop: Header=BB2_57 Depth=2
	s_and_saveexec_b64 s[38:39], s[16:17]
	s_cbranch_execz .LBB2_96
; %bb.84:                               ;   in Loop: Header=BB2_57 Depth=2
	s_mov_b64 s[42:43], exec
	v_mbcnt_lo_u32_b32 v3, s42, 0
	v_mbcnt_hi_u32_b32 v3, s43, v3
	v_cmp_eq_u32_e32 vcc, 0, v3
	s_waitcnt vmcnt(0) lgkmcnt(0)
	buffer_wbinvl1_vol
	s_and_saveexec_b64 s[40:41], vcc
	s_cbranch_execz .LBB2_86
; %bb.85:                               ;   in Loop: Header=BB2_57 Depth=2
	s_bcnt1_i32_b64 vcc_lo, s[42:43]
	v_mov_b32_e32 v4, vcc_lo
	v_mov_b32_e32 v5, v52
	ds_add_u64 v0, v[4:5]
	s_trap 2
.LBB2_86:                               ;   in Loop: Header=BB2_57 Depth=2
	s_or_b64 exec, exec, s[40:41]
	s_trap 2
	ds_read_b64 v[4:5], v0
	v_add_co_u32_e32 v48, vcc, v48, v54
	v_addc_co_u32_e32 v49, vcc, 0, v49, vcc
	s_waitcnt lgkmcnt(0)
	v_cmp_lt_u64_e32 vcc, v[4:5], v[48:49]
	s_and_saveexec_b64 s[40:41], vcc
	s_cbranch_execz .LBB2_95
; %bb.87:                               ;   in Loop: Header=BB2_57 Depth=2
	s_mov_b32 s67, 0
	s_mov_b64 s[42:43], 0
                                        ; implicit-def: $sgpr44_sgpr45
                                        ; implicit-def: $sgpr60_sgpr61
	s_branch .LBB2_89
.LBB2_88:                               ;   in Loop: Header=BB2_89 Depth=3
	s_or_b64 exec, exec, s[64:65]
	s_and_b64 vcc, exec, vcc
	s_or_b64 s[42:43], vcc, s[42:43]
	s_andn2_b64 vcc, s[44:45], exec
	s_and_b64 s[44:45], s[60:61], exec
	s_or_b64 s[44:45], vcc, s[44:45]
	s_andn2_b64 exec, exec, s[42:43]
	s_cbranch_execz .LBB2_93
.LBB2_89:                               ;   Parent Loop BB2_47 Depth=1
                                        ;     Parent Loop BB2_57 Depth=2
                                        ; =>    This Inner Loop Header: Depth=3
	s_add_i32 s67, s67, 1
	s_cmpk_lg_i32 s67, 0x2710
	s_cselect_b64 s[62:63], -1, 0
	s_and_b64 vcc, exec, s[62:63]
                                        ; implicit-def: $sgpr64_sgpr65
	s_cbranch_vccnz .LBB2_91
; %bb.90:                               ;   in Loop: Header=BB2_89 Depth=3
	s_trap 2
	ds_read_b64 v[4:5], v0
	s_andn2_b64 s[62:63], s[62:63], exec
	s_mov_b32 s67, 0
	s_mov_b64 s[64:65], -1
	s_waitcnt lgkmcnt(0)
	flat_load_dword v3, v[4:5] glc
	s_waitcnt vmcnt(0) lgkmcnt(0)
	buffer_invl2
	buffer_wbinvl1_vol
	v_cmp_eq_u32_e32 vcc, 0, v3
	s_and_b64 vcc, vcc, exec
	s_or_b64 s[62:63], s[62:63], vcc
.LBB2_91:                               ;   in Loop: Header=BB2_89 Depth=3
	s_andn2_b64 s[60:61], s[60:61], exec
	s_and_b64 s[64:65], s[64:65], exec
	s_mov_b64 vcc, -1
	s_or_b64 s[60:61], s[60:61], s[64:65]
	s_and_saveexec_b64 s[64:65], s[62:63]
	s_cbranch_execz .LBB2_88
; %bb.92:                               ;   in Loop: Header=BB2_89 Depth=3
	s_sleep 1
	s_trap 2
	ds_read_b64 v[4:5], v0
	s_andn2_b64 s[60:61], s[60:61], exec
	s_waitcnt lgkmcnt(0)
	v_cmp_ge_u64_e32 vcc, v[4:5], v[48:49]
	s_orn2_b64 vcc, vcc, exec
	s_branch .LBB2_88
.LBB2_93:                               ;   in Loop: Header=BB2_57 Depth=2
	s_or_b64 exec, exec, s[42:43]
	s_and_saveexec_b64 vcc, s[44:45]
	s_xor_b64 vcc, exec, vcc
	s_cbranch_execz .LBB2_95
; %bb.94:                               ;   in Loop: Header=BB2_57 Depth=2
	ds_write_b32 v0, v26
	s_trap 2
.LBB2_95:                               ;   in Loop: Header=BB2_57 Depth=2
	s_or_b64 exec, exec, s[40:41]
	;;#ASMSTART
	s_wakeup
	;;#ASMEND
.LBB2_96:                               ;   in Loop: Header=BB2_57 Depth=2
	s_or_b64 exec, exec, s[38:39]
.LBB2_97:                               ;   in Loop: Header=BB2_57 Depth=2
	s_andn2_saveexec_b64 vcc, s[36:37]
	s_cbranch_execz .LBB2_99
; %bb.98:                               ;   in Loop: Header=BB2_57 Depth=2
	s_waitcnt vmcnt(0) lgkmcnt(0)
	buffer_wbinvl1_vol
	s_barrier
.LBB2_99:                               ;   in Loop: Header=BB2_57 Depth=2
	s_or_b64 exec, exec, vcc
.LBB2_100:                              ;   in Loop: Header=BB2_57 Depth=2
	s_or_b64 exec, exec, s[26:27]
	s_trap 2
	ds_read_b32 v3, v0
	v_and_b32_e32 v4, 0x4000, v62
	v_cmp_ne_u32_e32 vcc, 0, v4
	s_xor_b64 s[26:27], s[6:7], -1
	s_and_b64 vcc, s[26:27], vcc
	s_and_saveexec_b64 s[26:27], vcc
	s_cbranch_execz .LBB2_119
; %bb.101:                              ;   in Loop: Header=BB2_57 Depth=2
	s_and_saveexec_b64 vcc, s[52:53]
	s_xor_b64 s[36:37], exec, vcc
	s_cbranch_execz .LBB2_116
; %bb.102:                              ;   in Loop: Header=BB2_57 Depth=2
	s_and_saveexec_b64 s[38:39], s[16:17]
	s_cbranch_execz .LBB2_115
; %bb.103:                              ;   in Loop: Header=BB2_57 Depth=2
	s_mov_b64 s[42:43], exec
	v_mbcnt_lo_u32_b32 v4, s42, 0
	v_mbcnt_hi_u32_b32 v4, s43, v4
	v_cmp_eq_u32_e32 vcc, 0, v4
	s_waitcnt vmcnt(0) lgkmcnt(0)
	buffer_wbinvl1_vol
	s_and_saveexec_b64 s[40:41], vcc
	s_cbranch_execz .LBB2_105
; %bb.104:                              ;   in Loop: Header=BB2_57 Depth=2
	s_bcnt1_i32_b64 vcc_lo, s[42:43]
	v_mov_b32_e32 v4, vcc_lo
	v_mov_b32_e32 v5, v52
	ds_add_u64 v0, v[4:5]
	s_trap 2
.LBB2_105:                              ;   in Loop: Header=BB2_57 Depth=2
	s_or_b64 exec, exec, s[40:41]
	s_trap 2
	ds_read_b64 v[4:5], v0
	v_add_co_u32_e32 v48, vcc, v48, v54
	v_addc_co_u32_e32 v49, vcc, 0, v49, vcc
	s_waitcnt lgkmcnt(0)
	v_cmp_lt_u64_e32 vcc, v[4:5], v[48:49]
	s_and_saveexec_b64 s[40:41], vcc
	s_cbranch_execz .LBB2_114
; %bb.106:                              ;   in Loop: Header=BB2_57 Depth=2
	s_mov_b32 s67, 0
	s_mov_b64 s[42:43], 0
                                        ; implicit-def: $sgpr44_sgpr45
                                        ; implicit-def: $sgpr60_sgpr61
	s_branch .LBB2_108
.LBB2_107:                              ;   in Loop: Header=BB2_108 Depth=3
	s_or_b64 exec, exec, s[64:65]
	s_and_b64 vcc, exec, vcc
	s_or_b64 s[42:43], vcc, s[42:43]
	s_andn2_b64 vcc, s[44:45], exec
	s_and_b64 s[44:45], s[60:61], exec
	s_or_b64 s[44:45], vcc, s[44:45]
	s_andn2_b64 exec, exec, s[42:43]
	s_cbranch_execz .LBB2_112
.LBB2_108:                              ;   Parent Loop BB2_47 Depth=1
                                        ;     Parent Loop BB2_57 Depth=2
                                        ; =>    This Inner Loop Header: Depth=3
	s_add_i32 s67, s67, 1
	s_cmpk_lg_i32 s67, 0x2710
	s_cselect_b64 s[62:63], -1, 0
	s_and_b64 vcc, exec, s[62:63]
                                        ; implicit-def: $sgpr64_sgpr65
	s_cbranch_vccnz .LBB2_110
; %bb.109:                              ;   in Loop: Header=BB2_108 Depth=3
	s_trap 2
	ds_read_b64 v[4:5], v0
	s_andn2_b64 s[62:63], s[62:63], exec
	s_mov_b32 s67, 0
	s_mov_b64 s[64:65], -1
	s_waitcnt lgkmcnt(0)
	flat_load_dword v4, v[4:5] glc
	s_waitcnt vmcnt(0) lgkmcnt(0)
	buffer_invl2
	buffer_wbinvl1_vol
	v_cmp_eq_u32_e32 vcc, 0, v4
	s_and_b64 vcc, vcc, exec
	s_or_b64 s[62:63], s[62:63], vcc
.LBB2_110:                              ;   in Loop: Header=BB2_108 Depth=3
	s_andn2_b64 s[60:61], s[60:61], exec
	s_and_b64 s[64:65], s[64:65], exec
	s_mov_b64 vcc, -1
	s_or_b64 s[60:61], s[60:61], s[64:65]
	s_and_saveexec_b64 s[64:65], s[62:63]
	s_cbranch_execz .LBB2_107
; %bb.111:                              ;   in Loop: Header=BB2_108 Depth=3
	s_sleep 1
	s_trap 2
	ds_read_b64 v[4:5], v0
	s_andn2_b64 s[60:61], s[60:61], exec
	s_waitcnt lgkmcnt(0)
	v_cmp_ge_u64_e32 vcc, v[4:5], v[48:49]
	s_orn2_b64 vcc, vcc, exec
	s_branch .LBB2_107
.LBB2_112:                              ;   in Loop: Header=BB2_57 Depth=2
	s_or_b64 exec, exec, s[42:43]
	s_and_saveexec_b64 vcc, s[44:45]
	s_xor_b64 vcc, exec, vcc
	s_cbranch_execz .LBB2_114
; %bb.113:                              ;   in Loop: Header=BB2_57 Depth=2
	ds_write_b32 v0, v26
	s_trap 2
.LBB2_114:                              ;   in Loop: Header=BB2_57 Depth=2
	s_or_b64 exec, exec, s[40:41]
	;;#ASMSTART
	s_wakeup
	;;#ASMEND
.LBB2_115:                              ;   in Loop: Header=BB2_57 Depth=2
	s_or_b64 exec, exec, s[38:39]
.LBB2_116:                              ;   in Loop: Header=BB2_57 Depth=2
	s_andn2_saveexec_b64 vcc, s[36:37]
	s_cbranch_execz .LBB2_118
; %bb.117:                              ;   in Loop: Header=BB2_57 Depth=2
	s_waitcnt vmcnt(0) lgkmcnt(0)
	buffer_wbinvl1_vol
	s_barrier
.LBB2_118:                              ;   in Loop: Header=BB2_57 Depth=2
	s_or_b64 exec, exec, vcc
.LBB2_119:                              ;   in Loop: Header=BB2_57 Depth=2
	s_or_b64 exec, exec, s[26:27]
	s_trap 2
	ds_read_b64 v[4:5], v0
	v_mov_b32_e32 v9, 0
	s_waitcnt lgkmcnt(0)
	v_readfirstlane_b32 s26, v4
	v_readfirstlane_b32 s27, v5
	s_cmp_eq_u64 s[26:27], 0
	s_cselect_b64 s[26:27], -1, 0
	s_or_b64 s[26:27], s[26:27], s[26:27]
	s_and_b64 vcc, exec, s[26:27]
	s_cbranch_vccnz .LBB2_140
; %bb.120:                              ;   in Loop: Header=BB2_57 Depth=2
	s_mov_b64 s[26:27], -1
	s_and_saveexec_b64 s[36:37], s[18:19]
	s_cbranch_execz .LBB2_122
; %bb.121:                              ;   in Loop: Header=BB2_57 Depth=2
	ds_read_b32 v4, v0 offset:720
	s_waitcnt lgkmcnt(0)
	v_and_b32_e32 v4, 15, v4
	v_cmp_eq_u32_e32 vcc, 0, v4
	s_orn2_b64 s[26:27], vcc, exec
.LBB2_122:                              ;   in Loop: Header=BB2_57 Depth=2
	s_or_b64 exec, exec, s[36:37]
	s_and_saveexec_b64 s[36:37], s[20:21]
	s_cbranch_execz .LBB2_124
; %bb.123:                              ;   in Loop: Header=BB2_57 Depth=2
	ds_read_b32 v4, v0 offset:784
	s_waitcnt lgkmcnt(0)
	v_and_b32_e32 v4, 15, v4
	v_cmp_eq_u32_e32 vcc, 0, v4
	s_and_b64 vcc, s[26:27], vcc
	s_andn2_b64 s[26:27], s[26:27], exec
	s_and_b64 vcc, vcc, exec
	s_or_b64 s[26:27], s[26:27], vcc
.LBB2_124:                              ;   in Loop: Header=BB2_57 Depth=2
	s_or_b64 exec, exec, s[36:37]
	v_cmp_eq_u32_e32 vcc, 0, v3
	s_xor_b64 s[26:27], s[26:27], -1
	v_cndmask_b32_e32 v9, 0, v2, vcc
	v_cndmask_b32_e64 v3, 0, 1, s[26:27]
	v_mov_b32_e32 v13, 0
	v_lshlrev_b32_e32 v15, 2, v9
	s_mov_b64 s[38:39], -1
	;;#ASMSTART
	;;#ASMEND
	v_cmp_ne_u32_e32 vcc, 0, v3
	s_cbranch_vccz .LBB2_141
; %bb.125:                              ;   in Loop: Header=BB2_57 Depth=2
	v_mov_b32_e32 v16, v44
	v_mov_b32_e32 v3, v57
	s_and_saveexec_b64 s[26:27], s[38:39]
	s_cbranch_execz .LBB2_154
.LBB2_126:                              ;   in Loop: Header=BB2_57 Depth=2
	v_ashrrev_i32_e32 v4, 31, v15
	v_lshrrev_b32_e32 v4, 23, v4
	v_add_u32_e32 v4, v15, v4
	v_ashrrev_i32_e32 v19, 9, v4
	v_sub_u32_e32 v17, v19, v3
	v_ashrrev_i32_e32 v4, 31, v16
	v_cmp_lt_i32_e32 vcc, 0, v17
	v_lshrrev_b32_e32 v18, 26, v4
	s_and_saveexec_b64 s[36:37], vcc
	s_cbranch_execz .LBB2_130
; %bb.127:                              ;   in Loop: Header=BB2_57 Depth=2
	v_add_u32_e32 v12, v16, v18
	s_trap 2
	ds_read_b64 v[4:5], v0
	v_and_b32_e32 v12, 0x3fffffc0, v12
	v_sub_u32_e32 v12, v16, v12
	v_lshlrev_b32_e32 v12, 2, v12
	v_lshlrev_b32_e32 v3, 9, v3
	v_add3_u32 v12, v12, v13, v3
	v_ashrrev_i32_e32 v3, 31, v12
	s_mov_b64 s[38:39], 0
.LBB2_128:                              ;   Parent Loop BB2_47 Depth=1
                                        ;     Parent Loop BB2_57 Depth=2
                                        ; =>    This Inner Loop Header: Depth=3
	s_waitcnt lgkmcnt(0)
	v_add_co_u32_e32 v20, vcc, v4, v12
	v_addc_co_u32_e32 v21, vcc, v5, v3, vcc
	flat_load_dword v22, v[20:21] glc slc
	flat_load_dword v23, v[20:21] offset:256 glc slc
	v_add_co_u32_e32 v12, vcc, v12, v31
	v_sub_u32_e32 v17, v17, v54
	v_addc_co_u32_e32 v3, vcc, v3, v1, vcc
	v_cmp_gt_i32_e32 vcc, 1, v17
	s_or_b64 s[38:39], vcc, s[38:39]
	s_waitcnt vmcnt(0) lgkmcnt(0)
	flat_store_dword v[20:21], v22 glc slc
	flat_store_dword v[20:21], v23 offset:256 glc slc
	s_andn2_b64 exec, exec, s[38:39]
	s_cbranch_execnz .LBB2_128
; %bb.129:                              ;   in Loop: Header=BB2_57 Depth=2
	s_or_b64 exec, exec, s[38:39]
	v_accvgpr_read_b32 v20, a28
	v_accvgpr_read_b32 v21, a29
.LBB2_130:                              ;   in Loop: Header=BB2_57 Depth=2
	s_or_b64 exec, exec, s[36:37]
	v_lshlrev_b32_e32 v3, 9, v19
	v_cmp_ne_u32_e32 vcc, v15, v3
	s_and_saveexec_b64 s[36:37], vcc
	s_cbranch_execz .LBB2_134
; %bb.131:                              ;   in Loop: Header=BB2_57 Depth=2
	v_add_u32_e32 v4, v16, v18
	v_and_b32_e32 v4, 0xffffffc0, v4
	v_sub_u32_e32 v4, v16, v4
	v_lshlrev_b32_e32 v5, 6, v17
	v_sub_u32_e32 v4, v4, v5
	v_ashrrev_i32_e32 v5, 31, v4
	v_lshrrev_b32_e32 v5, 26, v5
	v_add_u32_e32 v5, v4, v5
	v_and_b32_e32 v12, 0x3fffffc0, v5
	v_sub_u32_e32 v4, v4, v12
	v_lshlrev_b32_e32 v5, 2, v5
	v_and_b32_e32 v5, 0xffffff00, v5
	v_lshlrev_b32_e32 v4, 2, v4
	v_add3_u32 v3, v5, v4, v3
	v_sub_u32_e32 v15, v15, v3
	v_cmp_lt_i32_e32 vcc, 3, v15
	s_and_b64 exec, exec, vcc
	s_cbranch_execz .LBB2_134
; %bb.132:                              ;   in Loop: Header=BB2_57 Depth=2
	s_trap 2
	ds_read_b64 v[4:5], v0
	v_add_u32_e32 v12, v3, v13
	v_ashrrev_i32_e32 v3, 31, v12
	s_mov_b64 s[38:39], 0
.LBB2_133:                              ;   Parent Loop BB2_47 Depth=1
                                        ;     Parent Loop BB2_57 Depth=2
                                        ; =>    This Inner Loop Header: Depth=3
	s_waitcnt lgkmcnt(0)
	v_add_co_u32_e32 v16, vcc, v4, v12
	v_addc_co_u32_e32 v17, vcc, v5, v3, vcc
	flat_load_dword v13, v[16:17] glc slc
	v_add_co_u32_e32 v12, vcc, v12, v61
	v_sub_u32_e32 v15, v15, v43
	v_addc_co_u32_e32 v3, vcc, v3, v28, vcc
	v_cmp_gt_i32_e32 vcc, 4, v15
	s_or_b64 s[38:39], vcc, s[38:39]
	s_waitcnt vmcnt(0) lgkmcnt(0)
	flat_store_dword v[16:17], v13 glc slc
	s_andn2_b64 exec, exec, s[38:39]
	s_cbranch_execnz .LBB2_133
.LBB2_134:                              ;   in Loop: Header=BB2_57 Depth=2
	s_or_b64 exec, exec, s[36:37]
	v_accvgpr_read_b32 v18, a20
	v_accvgpr_read_b32 v19, a21
	s_or_b64 exec, exec, s[26:27]
	s_and_saveexec_b64 s[26:27], s[10:11]
	s_cbranch_execnz .LBB2_155
.LBB2_135:                              ;   in Loop: Header=BB2_57 Depth=2
	s_or_b64 exec, exec, s[26:27]
                                        ; implicit-def: $vgpr3
	s_and_saveexec_b64 s[26:27], s[24:25]
	s_xor_b64 s[36:37], exec, s[26:27]
	s_cbranch_execz .LBB2_173
.LBB2_136:                              ;   in Loop: Header=BB2_57 Depth=2
	v_and_b32_e32 v4, 16, v62
	v_cmp_lt_i32_e32 vcc, 0, v9
	v_cmp_ne_u32_e64 s[26:27], 0, v4
	v_and_b32_e32 v3, 16, v62
	s_and_b64 vcc, s[26:27], vcc
	s_and_saveexec_b64 s[26:27], vcc
	s_cbranch_execz .LBB2_138
; %bb.137:                              ;   in Loop: Header=BB2_57 Depth=2
	v_mov_b32_e32 v3, 1
	s_waitcnt vmcnt(0) lgkmcnt(0)
	buffer_wbinvl1_vol
.LBB2_138:                              ;   in Loop: Header=BB2_57 Depth=2
	s_or_b64 exec, exec, s[26:27]
	s_andn2_saveexec_b64 s[26:27], s[36:37]
	s_cbranch_execnz .LBB2_174
.LBB2_139:                              ;   in Loop: Header=BB2_57 Depth=2
	s_or_b64 exec, exec, s[26:27]
	v_cmp_ne_u32_e32 vcc, 0, v3
	s_and_saveexec_b64 s[26:27], vcc
	s_cbranch_execz .LBB2_56
	s_branch .LBB2_192
.LBB2_140:                              ;   in Loop: Header=BB2_57 Depth=2
	s_and_saveexec_b64 s[26:27], s[10:11]
	s_cbranch_execnz .LBB2_155
	s_branch .LBB2_135
.LBB2_141:                              ;   in Loop: Header=BB2_57 Depth=2
	v_ashrrev_i32_e32 v4, 31, v15
	v_lshrrev_b32_e32 v4, 22, v4
	v_add_u32_e32 v4, v15, v4
	v_and_b32_e32 v17, 0xfffffc00, v4
	v_sub_u32_e32 v20, v15, v17
	v_ashrrev_i32_e32 v5, 10, v4
	v_cmp_lt_i32_e32 vcc, 15, v20
	v_accvgpr_read_b32 v4, a25
	v_sub_u32_e32 v3, v15, v58
	v_addc_co_u32_e64 v19, s[26:27], v5, v4, vcc
	v_cmp_lt_i32_e64 s[26:27], 15, v3
	s_and_saveexec_b64 s[36:37], s[26:27]
	s_cbranch_execz .LBB2_145
; %bb.142:                              ;   in Loop: Header=BB2_57 Depth=2
	s_trap 2
	ds_read_b64 v[4:5], v0
	s_mov_b64 s[38:39], 0
	v_pk_mov_b32 v[12:13], v[58:59], v[58:59] op_sel:[0,1]
.LBB2_143:                              ;   Parent Loop BB2_47 Depth=1
                                        ;     Parent Loop BB2_57 Depth=2
                                        ; =>    This Inner Loop Header: Depth=3
	s_waitcnt lgkmcnt(0)
	v_add_co_u32_e64 v26, s[26:27], v4, v12
	v_addc_co_u32_e64 v27, s[26:27], v5, v13, s[26:27]
	global_load_dwordx4 v[22:25], v[26:27], off glc slc
	v_add_co_u32_e64 v12, s[26:27], v12, v0
	v_sub_u32_e32 v3, v3, v42
	v_addc_co_u32_e64 v13, s[26:27], v13, v60, s[26:27]
	v_cmp_gt_i32_e64 s[26:27], 16, v3
	v_sub_u32_e32 v19, v19, v54
	s_or_b64 s[38:39], s[26:27], s[38:39]
	s_waitcnt vmcnt(0)
	global_store_dwordx4 v[26:27], v[22:25], off glc slc
	s_andn2_b64 exec, exec, s[38:39]
	s_cbranch_execnz .LBB2_143
; %bb.144:                              ;   in Loop: Header=BB2_57 Depth=2
	s_or_b64 exec, exec, s[38:39]
	v_accvgpr_read_b32 v27, a23
	v_mov_b32_e32 v26, 1
.LBB2_145:                              ;   in Loop: Header=BB2_57 Depth=2
	s_or_b64 exec, exec, s[36:37]
	v_and_b32_e32 v4, 12, v15
	v_cndmask_b32_e32 v18, v20, v4, vcc
	v_cmp_ne_u32_e64 s[26:27], 0, v18
	s_mov_b64 s[38:39], 0
	v_mov_b32_e32 v13, 0
                                        ; implicit-def: $vgpr15
                                        ; implicit-def: $vgpr16
                                        ; implicit-def: $vgpr3
	s_and_saveexec_b64 s[36:37], s[26:27]
	s_cbranch_execz .LBB2_153
; %bb.146:                              ;   in Loop: Header=BB2_57 Depth=2
	v_sub_u32_e32 v3, v20, v4
	v_cndmask_b32_e32 v3, 0, v3, vcc
	v_cmp_lt_i32_e32 vcc, 0, v19
	v_add_u32_e32 v17, v3, v17
	v_cndmask_b32_e32 v3, 0, v54, vcc
	v_sub_u32_e32 v3, v3, v19
	v_lshl_add_u32 v3, v3, 6, v41
	v_ashrrev_i32_e32 v4, 31, v3
	v_lshrrev_b32_e32 v4, 26, v4
	v_add_u32_e32 v4, v3, v4
	v_ashrrev_i32_e32 v5, 6, v4
	v_and_b32_e32 v4, 0xffffffc0, v4
	v_sub_u32_e32 v19, v3, v4
	v_ashrrev_i32_e32 v4, 31, v18
	v_lshrrev_b32_e32 v4, 22, v4
	v_add_u32_e32 v4, v18, v4
	v_and_b32_e32 v20, 0xfffffc00, v4
	v_lshlrev_b32_e32 v3, 4, v19
	v_sub_u32_e32 v22, v18, v20
	v_lshl_add_u32 v3, v5, 10, v3
	v_ashrrev_i32_e32 v12, 10, v4
	v_cmp_lt_i32_e32 vcc, 15, v22
	v_sub_u32_e32 v13, v18, v3
	v_addc_co_u32_e64 v4, s[26:27], 0, v12, vcc
	v_sub_u32_e32 v21, v4, v5
	v_cmp_lt_i32_e64 s[26:27], 15, v13
	s_and_saveexec_b64 s[38:39], s[26:27]
	s_cbranch_execz .LBB2_150
; %bb.147:                              ;   in Loop: Header=BB2_57 Depth=2
	s_trap 2
	ds_read_b64 v[4:5], v0
	v_add_u32_e32 v12, v3, v17
	v_ashrrev_i32_e32 v3, 31, v12
	s_mov_b64 s[40:41], 0
.LBB2_148:                              ;   Parent Loop BB2_47 Depth=1
                                        ;     Parent Loop BB2_57 Depth=2
                                        ; =>    This Inner Loop Header: Depth=3
	s_waitcnt lgkmcnt(0)
	v_add_co_u32_e64 v38, s[26:27], v4, v12
	v_addc_co_u32_e64 v39, s[26:27], v5, v3, s[26:27]
	global_load_dwordx4 v[24:27], v[38:39], off glc slc
	v_add_co_u32_e64 v12, s[26:27], v12, v0
	v_sub_u32_e32 v13, v13, v42
	v_addc_co_u32_e64 v3, s[26:27], v3, v60, s[26:27]
	v_cmp_gt_i32_e64 s[26:27], 16, v13
	v_sub_u32_e32 v21, v21, v54
	s_or_b64 s[40:41], s[26:27], s[40:41]
	s_waitcnt vmcnt(0)
	global_store_dwordx4 v[38:39], v[24:27], off glc slc
	s_andn2_b64 exec, exec, s[40:41]
	s_cbranch_execnz .LBB2_148
; %bb.149:                              ;   in Loop: Header=BB2_57 Depth=2
	s_or_b64 exec, exec, s[40:41]
	v_accvgpr_read_b32 v39, a13
	v_accvgpr_read_b32 v38, a12
	;; [unrolled: 1-line block ×3, first 2 shown]
	v_mov_b32_e32 v26, 1
.LBB2_150:                              ;   in Loop: Header=BB2_57 Depth=2
	s_or_b64 exec, exec, s[38:39]
	v_and_b32_e32 v4, 12, v18
	v_cndmask_b32_e32 v15, v22, v4, vcc
	v_cmp_ne_u32_e64 s[26:27], 0, v15
	s_mov_b64 s[38:39], 0
	v_mov_b32_e32 v13, 0
                                        ; implicit-def: $vgpr16
                                        ; implicit-def: $vgpr3
	s_and_saveexec_b64 s[40:41], s[26:27]
	s_cbranch_execz .LBB2_152
; %bb.151:                              ;   in Loop: Header=BB2_57 Depth=2
	v_sub_u32_e32 v3, v22, v4
	v_cndmask_b32_e32 v3, 0, v3, vcc
	v_cmp_lt_i32_e32 vcc, 0, v21
	v_add3_u32 v13, v20, v17, v3
	v_cndmask_b32_e32 v3, 0, v54, vcc
	v_sub_u32_e32 v3, v3, v21
	v_lshl_add_u32 v16, v3, 6, v19
	v_ashrrev_i32_e32 v3, 31, v16
	v_lshrrev_b32_e32 v3, 26, v3
	v_add_u32_e32 v3, v16, v3
	s_mov_b64 s[38:39], exec
	v_ashrrev_i32_e32 v3, 6, v3
.LBB2_152:                              ;   in Loop: Header=BB2_57 Depth=2
	s_or_b64 exec, exec, s[40:41]
	s_and_b64 s[38:39], s[38:39], exec
.LBB2_153:                              ;   in Loop: Header=BB2_57 Depth=2
	s_or_b64 exec, exec, s[36:37]
	v_accvgpr_read_b32 v18, a20
	v_accvgpr_read_b32 v20, a28
	;; [unrolled: 1-line block ×4, first 2 shown]
	s_and_saveexec_b64 s[26:27], s[38:39]
	s_cbranch_execnz .LBB2_126
.LBB2_154:                              ;   in Loop: Header=BB2_57 Depth=2
	s_or_b64 exec, exec, s[26:27]
	s_and_saveexec_b64 s[26:27], s[10:11]
	s_cbranch_execz .LBB2_135
.LBB2_155:                              ;   in Loop: Header=BB2_57 Depth=2
	s_and_saveexec_b64 vcc, s[52:53]
	s_xor_b64 s[36:37], exec, vcc
	s_cbranch_execz .LBB2_170
; %bb.156:                              ;   in Loop: Header=BB2_57 Depth=2
	s_and_saveexec_b64 s[38:39], s[16:17]
	s_cbranch_execz .LBB2_169
; %bb.157:                              ;   in Loop: Header=BB2_57 Depth=2
	s_mov_b64 s[42:43], exec
	v_mbcnt_lo_u32_b32 v3, s42, 0
	v_mbcnt_hi_u32_b32 v3, s43, v3
	v_cmp_eq_u32_e32 vcc, 0, v3
	s_waitcnt vmcnt(0) lgkmcnt(0)
	buffer_wbinvl1_vol
	s_and_saveexec_b64 s[40:41], vcc
	s_cbranch_execz .LBB2_159
; %bb.158:                              ;   in Loop: Header=BB2_57 Depth=2
	s_bcnt1_i32_b64 vcc_lo, s[42:43]
	v_mov_b32_e32 v4, vcc_lo
	v_mov_b32_e32 v5, v52
	ds_add_u64 v0, v[4:5]
	s_trap 2
.LBB2_159:                              ;   in Loop: Header=BB2_57 Depth=2
	s_or_b64 exec, exec, s[40:41]
	s_trap 2
	ds_read_b64 v[4:5], v0
	v_add_co_u32_e32 v48, vcc, v48, v54
	v_addc_co_u32_e32 v49, vcc, 0, v49, vcc
	s_waitcnt lgkmcnt(0)
	v_cmp_lt_u64_e32 vcc, v[4:5], v[48:49]
	s_and_saveexec_b64 s[40:41], vcc
	s_cbranch_execz .LBB2_168
; %bb.160:                              ;   in Loop: Header=BB2_57 Depth=2
	s_mov_b32 s67, 0
	s_mov_b64 s[42:43], 0
                                        ; implicit-def: $sgpr44_sgpr45
                                        ; implicit-def: $sgpr60_sgpr61
	s_branch .LBB2_162
.LBB2_161:                              ;   in Loop: Header=BB2_162 Depth=3
	s_or_b64 exec, exec, s[64:65]
	s_and_b64 vcc, exec, vcc
	s_or_b64 s[42:43], vcc, s[42:43]
	s_andn2_b64 vcc, s[44:45], exec
	s_and_b64 s[44:45], s[60:61], exec
	s_or_b64 s[44:45], vcc, s[44:45]
	s_andn2_b64 exec, exec, s[42:43]
	s_cbranch_execz .LBB2_166
.LBB2_162:                              ;   Parent Loop BB2_47 Depth=1
                                        ;     Parent Loop BB2_57 Depth=2
                                        ; =>    This Inner Loop Header: Depth=3
	s_add_i32 s67, s67, 1
	s_cmpk_lg_i32 s67, 0x2710
	s_cselect_b64 s[62:63], -1, 0
	s_and_b64 vcc, exec, s[62:63]
                                        ; implicit-def: $sgpr64_sgpr65
	s_cbranch_vccnz .LBB2_164
; %bb.163:                              ;   in Loop: Header=BB2_162 Depth=3
	s_trap 2
	ds_read_b64 v[4:5], v0
	s_andn2_b64 s[62:63], s[62:63], exec
	s_mov_b32 s67, 0
	s_mov_b64 s[64:65], -1
	s_waitcnt lgkmcnt(0)
	flat_load_dword v3, v[4:5] glc
	s_waitcnt vmcnt(0) lgkmcnt(0)
	buffer_invl2
	buffer_wbinvl1_vol
	v_cmp_eq_u32_e32 vcc, 0, v3
	s_and_b64 vcc, vcc, exec
	s_or_b64 s[62:63], s[62:63], vcc
.LBB2_164:                              ;   in Loop: Header=BB2_162 Depth=3
	s_andn2_b64 s[60:61], s[60:61], exec
	s_and_b64 s[64:65], s[64:65], exec
	s_mov_b64 vcc, -1
	s_or_b64 s[60:61], s[60:61], s[64:65]
	s_and_saveexec_b64 s[64:65], s[62:63]
	s_cbranch_execz .LBB2_161
; %bb.165:                              ;   in Loop: Header=BB2_162 Depth=3
	s_sleep 1
	s_trap 2
	ds_read_b64 v[4:5], v0
	s_andn2_b64 s[60:61], s[60:61], exec
	s_waitcnt lgkmcnt(0)
	v_cmp_ge_u64_e32 vcc, v[4:5], v[48:49]
	s_orn2_b64 vcc, vcc, exec
	s_branch .LBB2_161
.LBB2_166:                              ;   in Loop: Header=BB2_57 Depth=2
	s_or_b64 exec, exec, s[42:43]
	s_and_saveexec_b64 vcc, s[44:45]
	s_xor_b64 vcc, exec, vcc
	s_cbranch_execz .LBB2_168
; %bb.167:                              ;   in Loop: Header=BB2_57 Depth=2
	ds_write_b32 v0, v26
	s_trap 2
.LBB2_168:                              ;   in Loop: Header=BB2_57 Depth=2
	s_or_b64 exec, exec, s[40:41]
	;;#ASMSTART
	s_wakeup
	;;#ASMEND
.LBB2_169:                              ;   in Loop: Header=BB2_57 Depth=2
	s_or_b64 exec, exec, s[38:39]
.LBB2_170:                              ;   in Loop: Header=BB2_57 Depth=2
	s_andn2_saveexec_b64 vcc, s[36:37]
	s_cbranch_execz .LBB2_172
; %bb.171:                              ;   in Loop: Header=BB2_57 Depth=2
	s_waitcnt vmcnt(0) lgkmcnt(0)
	buffer_wbinvl1_vol
	s_barrier
.LBB2_172:                              ;   in Loop: Header=BB2_57 Depth=2
	s_or_b64 exec, exec, vcc
	s_or_b64 exec, exec, s[26:27]
                                        ; implicit-def: $vgpr3
	s_and_saveexec_b64 s[26:27], s[24:25]
	s_xor_b64 s[36:37], exec, s[26:27]
	s_cbranch_execnz .LBB2_136
.LBB2_173:                              ;   in Loop: Header=BB2_57 Depth=2
	s_andn2_saveexec_b64 s[26:27], s[36:37]
	s_cbranch_execz .LBB2_139
.LBB2_174:                              ;   in Loop: Header=BB2_57 Depth=2
	s_and_saveexec_b64 vcc, s[52:53]
	s_xor_b64 s[36:37], exec, vcc
	s_cbranch_execz .LBB2_189
; %bb.175:                              ;   in Loop: Header=BB2_57 Depth=2
	s_and_saveexec_b64 s[38:39], s[16:17]
	s_cbranch_execz .LBB2_188
; %bb.176:                              ;   in Loop: Header=BB2_57 Depth=2
	s_mov_b64 s[42:43], exec
	v_mbcnt_lo_u32_b32 v3, s42, 0
	v_mbcnt_hi_u32_b32 v3, s43, v3
	v_cmp_eq_u32_e32 vcc, 0, v3
	;;#ASMSTART
	s_waitcnt lgkmcnt(0) vmcnt(0)
	;;#ASMEND
	s_and_saveexec_b64 s[40:41], vcc
	s_cbranch_execz .LBB2_178
; %bb.177:                              ;   in Loop: Header=BB2_57 Depth=2
	s_bcnt1_i32_b64 vcc_lo, s[42:43]
	v_mov_b32_e32 v4, vcc_lo
	v_mov_b32_e32 v5, v52
	ds_add_u64 v0, v[4:5]
	s_trap 2
.LBB2_178:                              ;   in Loop: Header=BB2_57 Depth=2
	s_or_b64 exec, exec, s[40:41]
	s_trap 2
	ds_read_b64 v[4:5], v0
	v_add_co_u32_e32 v48, vcc, v48, v54
	v_addc_co_u32_e32 v49, vcc, 0, v49, vcc
	s_waitcnt lgkmcnt(0)
	v_cmp_lt_u64_e32 vcc, v[4:5], v[48:49]
	s_and_saveexec_b64 s[40:41], vcc
	s_cbranch_execz .LBB2_187
; %bb.179:                              ;   in Loop: Header=BB2_57 Depth=2
	s_mov_b32 s67, 0
	s_mov_b64 s[42:43], 0
                                        ; implicit-def: $sgpr44_sgpr45
                                        ; implicit-def: $sgpr60_sgpr61
	s_branch .LBB2_181
.LBB2_180:                              ;   in Loop: Header=BB2_181 Depth=3
	s_or_b64 exec, exec, s[64:65]
	s_and_b64 vcc, exec, vcc
	s_or_b64 s[42:43], vcc, s[42:43]
	s_andn2_b64 vcc, s[44:45], exec
	s_and_b64 s[44:45], s[60:61], exec
	s_or_b64 s[44:45], vcc, s[44:45]
	s_andn2_b64 exec, exec, s[42:43]
	s_cbranch_execz .LBB2_185
.LBB2_181:                              ;   Parent Loop BB2_47 Depth=1
                                        ;     Parent Loop BB2_57 Depth=2
                                        ; =>    This Inner Loop Header: Depth=3
	s_add_i32 s67, s67, 1
	s_cmpk_lg_i32 s67, 0x2710
	s_cselect_b64 s[62:63], -1, 0
	s_and_b64 vcc, exec, s[62:63]
                                        ; implicit-def: $sgpr64_sgpr65
	s_cbranch_vccnz .LBB2_183
; %bb.182:                              ;   in Loop: Header=BB2_181 Depth=3
	s_trap 2
	ds_read_b64 v[4:5], v0
	s_andn2_b64 s[62:63], s[62:63], exec
	s_mov_b32 s67, 0
	s_mov_b64 s[64:65], -1
	s_waitcnt vmcnt(0) lgkmcnt(0)
	flat_load_dword v3, v[4:5] glc
	s_waitcnt vmcnt(0) lgkmcnt(0)
	buffer_invl2
	buffer_wbinvl1_vol
	v_cmp_eq_u32_e32 vcc, 0, v3
	s_and_b64 vcc, vcc, exec
	s_or_b64 s[62:63], s[62:63], vcc
.LBB2_183:                              ;   in Loop: Header=BB2_181 Depth=3
	s_andn2_b64 s[60:61], s[60:61], exec
	s_and_b64 s[64:65], s[64:65], exec
	s_mov_b64 vcc, -1
	s_or_b64 s[60:61], s[60:61], s[64:65]
	s_and_saveexec_b64 s[64:65], s[62:63]
	s_cbranch_execz .LBB2_180
; %bb.184:                              ;   in Loop: Header=BB2_181 Depth=3
	s_sleep 1
	s_trap 2
	ds_read_b64 v[4:5], v0
	s_andn2_b64 s[60:61], s[60:61], exec
	s_waitcnt lgkmcnt(0)
	v_cmp_ge_u64_e32 vcc, v[4:5], v[48:49]
	s_orn2_b64 vcc, vcc, exec
	s_branch .LBB2_180
.LBB2_185:                              ;   in Loop: Header=BB2_57 Depth=2
	s_or_b64 exec, exec, s[42:43]
	s_and_saveexec_b64 vcc, s[44:45]
	s_xor_b64 vcc, exec, vcc
	s_cbranch_execz .LBB2_187
; %bb.186:                              ;   in Loop: Header=BB2_57 Depth=2
	ds_write_b32 v0, v26
	s_trap 2
.LBB2_187:                              ;   in Loop: Header=BB2_57 Depth=2
	s_or_b64 exec, exec, s[40:41]
	;;#ASMSTART
	s_wakeup
	;;#ASMEND
.LBB2_188:                              ;   in Loop: Header=BB2_57 Depth=2
	s_or_b64 exec, exec, s[38:39]
.LBB2_189:                              ;   in Loop: Header=BB2_57 Depth=2
	s_andn2_saveexec_b64 vcc, s[36:37]
	s_cbranch_execz .LBB2_191
; %bb.190:                              ;   in Loop: Header=BB2_57 Depth=2
	;;#ASMSTART
	s_waitcnt lgkmcnt(0) vmcnt(0)
	;;#ASMEND
	s_barrier
.LBB2_191:                              ;   in Loop: Header=BB2_57 Depth=2
	s_or_b64 exec, exec, vcc
	v_and_b32_e32 v3, 16, v62
	s_or_b64 exec, exec, s[26:27]
	v_cmp_ne_u32_e32 vcc, 0, v3
	s_and_saveexec_b64 s[26:27], vcc
	s_cbranch_execz .LBB2_56
.LBB2_192:                              ;   in Loop: Header=BB2_57 Depth=2
	s_and_saveexec_b64 vcc, s[14:15]
	s_cbranch_execz .LBB2_55
; %bb.193:                              ;   in Loop: Header=BB2_57 Depth=2
	flat_store_dword v[46:47], v26
	s_branch .LBB2_55
.LBB2_194:                              ;   in Loop: Header=BB2_47 Depth=1
	s_or_b64 exec, exec, s[30:31]
.LBB2_195:                              ;   in Loop: Header=BB2_47 Depth=1
	s_or_b64 exec, exec, s[28:29]
	v_cmp_gt_i32_e32 vcc, 2, v3
	s_and_saveexec_b64 s[28:29], vcc
	s_cbranch_execz .LBB2_267
; %bb.196:                              ;   in Loop: Header=BB2_47 Depth=1
	v_cmp_eq_u32_e64 s[26:27], 0, v3
	s_mov_b64 s[30:31], 0
	s_branch .LBB2_199
.LBB2_197:                              ;   in Loop: Header=BB2_199 Depth=2
	s_or_b64 exec, exec, vcc
	v_add_co_u32_e32 v32, vcc, 2, v32
	v_addc_co_u32_e32 v33, vcc, 0, v33, vcc
	flat_store_dwordx2 v[34:35], v[32:33]
.LBB2_198:                              ;   in Loop: Header=BB2_199 Depth=2
	s_or_b64 exec, exec, s[26:27]
	v_add_u32_e32 v8, v2, v8
	s_mov_b64 s[26:27], 0
	s_andn2_b64 exec, exec, s[30:31]
	s_cbranch_execz .LBB2_266
.LBB2_199:                              ;   Parent Loop BB2_47 Depth=1
                                        ; =>  This Loop Header: Depth=2
                                        ;       Child Loop BB2_205 Depth 3
                                        ;       Child Loop BB2_234 Depth 3
	;; [unrolled: 1-line block ×3, first 2 shown]
	v_and_b32_e32 v3, 8, v62
	s_mov_b64 s[36:37], -1
	v_cmp_ne_u32_e32 vcc, 0, v3
	s_and_saveexec_b64 s[34:35], vcc
	s_cbranch_execz .LBB2_211
; %bb.200:                              ;   in Loop: Header=BB2_199 Depth=2
	v_add_co_u32_e32 v10, vcc, 8, v50
	v_addc_co_u32_e32 v11, vcc, 0, v51, vcc
	v_add_co_u32_e32 v4, vcc, 2, v32
	v_addc_co_u32_e32 v5, vcc, 0, v33, vcc
	v_cmp_lt_u64_e32 vcc, v[10:11], v[4:5]
	v_mov_b32_e32 v3, 1
	s_and_saveexec_b64 s[36:37], vcc
	s_cbranch_execz .LBB2_210
; %bb.201:                              ;   in Loop: Header=BB2_199 Depth=2
	s_mov_b64 s[38:39], 0
	v_mov_b32_e32 v3, 0
                                        ; implicit-def: $sgpr40_sgpr41
	s_branch .LBB2_205
.LBB2_202:                              ;   in Loop: Header=BB2_205 Depth=3
	s_or_b64 exec, exec, s[62:63]
	v_mov_b32_e32 v9, 0
	s_orn2_b64 s[60:61], s[60:61], exec
.LBB2_203:                              ;   in Loop: Header=BB2_205 Depth=3
	s_or_b64 exec, exec, s[44:45]
	s_andn2_b64 vcc, s[40:41], exec
	s_and_b64 s[40:41], s[60:61], exec
	s_or_b64 s[40:41], vcc, s[40:41]
	v_mov_b32_e32 v3, v9
.LBB2_204:                              ;   in Loop: Header=BB2_205 Depth=3
	s_or_b64 exec, exec, s[42:43]
	s_waitcnt vmcnt(0) lgkmcnt(0)
	v_add_co_u32_e32 v10, vcc, 8, v50
	v_addc_co_u32_e32 v11, vcc, 0, v51, vcc
	v_cmp_ge_u64_e32 vcc, v[10:11], v[4:5]
	s_xor_b64 s[42:43], s[40:41], -1
	s_or_b64 vcc, s[42:43], vcc
	s_and_b64 vcc, exec, vcc
	s_or_b64 s[38:39], vcc, s[38:39]
	s_andn2_b64 exec, exec, s[38:39]
	s_cbranch_execz .LBB2_209
.LBB2_205:                              ;   Parent Loop BB2_47 Depth=1
                                        ;     Parent Loop BB2_199 Depth=2
                                        ; =>    This Inner Loop Header: Depth=3
	s_sleep 1
	flat_load_dwordx2 v[50:51], v[34:35] glc
	v_and_b32_e32 v9, 64, v62
	v_cmp_eq_u32_e32 vcc, 0, v9
	s_andn2_b64 s[40:41], s[40:41], exec
	s_and_saveexec_b64 s[42:43], vcc
	s_cbranch_execz .LBB2_204
; %bb.206:                              ;   in Loop: Header=BB2_205 Depth=3
	v_add_u32_e32 v9, 1, v3
	v_cmp_lt_i32_e32 vcc, s83, v3
	s_mov_b64 s[60:61], -1
	s_and_saveexec_b64 s[44:45], vcc
	s_cbranch_execz .LBB2_203
; %bb.207:                              ;   in Loop: Header=BB2_205 Depth=3
	s_trap 2
	ds_read_b64 v[10:11], v0
	s_waitcnt vmcnt(0) lgkmcnt(0)
	flat_load_dword v3, v[10:11] glc
	s_waitcnt vmcnt(0) lgkmcnt(0)
	buffer_invl2
	buffer_wbinvl1_vol
	v_cmp_ne_u32_e32 vcc, 0, v3
	s_and_saveexec_b64 s[62:63], vcc
	s_cbranch_execz .LBB2_202
; %bb.208:                              ;   in Loop: Header=BB2_205 Depth=3
	v_or_b32_e32 v62, 64, v62
	s_xor_b64 s[60:61], exec, -1
	ds_write_b32 v0, v3
	s_trap 2
	s_branch .LBB2_202
.LBB2_209:                              ;   in Loop: Header=BB2_199 Depth=2
	s_or_b64 exec, exec, s[38:39]
	v_and_b32_e32 v3, 8, v62
.LBB2_210:                              ;   in Loop: Header=BB2_199 Depth=2
	s_or_b64 exec, exec, s[36:37]
	v_cmp_eq_u32_e32 vcc, 0, v3
	s_orn2_b64 s[36:37], vcc, exec
	;;#ASMSTART
	s_wakeup
	;;#ASMEND
.LBB2_211:                              ;   in Loop: Header=BB2_199 Depth=2
	s_or_b64 exec, exec, s[34:35]
	s_xor_b64 s[26:27], s[26:27], -1
	s_and_b64 s[26:27], exec, s[26:27]
	s_or_b64 s[30:31], s[26:27], s[30:31]
	v_sub_u32_e32 v3, v14, v8
	s_xor_b64 s[26:27], s[36:37], -1
	v_min_i32_e32 v2, v2, v3
	s_and_saveexec_b64 s[34:35], s[26:27]
	s_cbranch_execz .LBB2_226
; %bb.212:                              ;   in Loop: Header=BB2_199 Depth=2
	v_and_b32_e32 v3, 0x100, v62
	v_cmp_ne_u32_e32 vcc, 0, v3
	v_and_b32_e32 v9, 7, v32
	s_mov_b64 s[26:27], -1
                                        ; implicit-def: $vgpr4_vgpr5
	s_and_saveexec_b64 s[36:37], vcc
	s_cbranch_execz .LBB2_216
; %bb.213:                              ;   in Loop: Header=BB2_199 Depth=2
	v_mad_u64_u32 v[10:11], s[26:27], v9, 24, v[38:39]
	flat_load_dword v12, v[10:11]
	v_ashrrev_i32_e32 v3, 31, v2
	v_lshlrev_b64 v[4:5], 2, v[2:3]
	flat_store_dwordx2 v[10:11], v[4:5] offset:8
                                        ; implicit-def: $vgpr4_vgpr5
	s_waitcnt vmcnt(0) lgkmcnt(0)
	v_cmp_ne_u32_e32 vcc, 1, v12
	v_cmp_eq_u32_e64 s[26:27], 1, v12
	s_and_saveexec_b64 s[38:39], s[26:27]
	s_cbranch_execz .LBB2_215
; %bb.214:                              ;   in Loop: Header=BB2_199 Depth=2
	flat_load_dword v4, v[10:11] offset:4 glc
	s_waitcnt vmcnt(0) lgkmcnt(0)
	v_ashrrev_i32_e32 v5, 31, v4
	v_lshrrev_b64 v[4:5], 2, v[4:5]
.LBB2_215:                              ;   in Loop: Header=BB2_199 Depth=2
	s_or_b64 exec, exec, s[38:39]
	s_orn2_b64 s[26:27], vcc, exec
.LBB2_216:                              ;   in Loop: Header=BB2_199 Depth=2
	s_or_b64 exec, exec, s[36:37]
	s_and_saveexec_b64 vcc, s[26:27]
; %bb.217:                              ;   in Loop: Header=BB2_199 Depth=2
	v_mad_i64_i32 v[4:5], s[26:27], v9, v30, 0
; %bb.218:                              ;   in Loop: Header=BB2_199 Depth=2
	s_or_b64 exec, exec, vcc
	v_lshlrev_b64 v[4:5], 2, v[4:5]
	v_add_co_u32_e32 v4, vcc, v36, v4
	v_addc_co_u32_e32 v5, vcc, v37, v5, vcc
	v_and_b32_e32 v3, 0x2000, v62
	v_cmp_ne_u32_e32 vcc, 0, v3
	ds_write_b64 v0, v[4:5] offset:784
	s_and_saveexec_b64 s[26:27], vcc
	s_cbranch_execz .LBB2_220
; %bb.219:                              ;   in Loop: Header=BB2_199 Depth=2
	ds_read_b64 v[4:5], v0 offset:584
	s_waitcnt lgkmcnt(0)
	v_add_co_u32_e32 v4, vcc, 1, v4
	v_addc_co_u32_e32 v5, vcc, 0, v5, vcc
	ds_write_b64 v0, v[4:5] offset:584
.LBB2_220:                              ;   in Loop: Header=BB2_199 Depth=2
	s_or_b64 exec, exec, s[26:27]
	v_add_co_u32_e32 v32, vcc, 2, v32
	v_addc_co_u32_e32 v33, vcc, 0, v33, vcc
	s_or_b64 exec, exec, s[34:35]
	s_and_saveexec_b64 s[26:27], s[10:11]
	s_cbranch_execnz .LBB2_227
.LBB2_221:                              ;   in Loop: Header=BB2_199 Depth=2
	s_or_b64 exec, exec, s[26:27]
                                        ; implicit-def: $vgpr3
	s_and_saveexec_b64 s[26:27], s[24:25]
	s_xor_b64 s[26:27], exec, s[26:27]
	s_cbranch_execz .LBB2_245
.LBB2_222:                              ;   in Loop: Header=BB2_199 Depth=2
	s_trap 2
	ds_read_b32 v4, v0
	v_cmp_lt_i32_e32 vcc, 0, v2
	v_and_b32_e32 v5, 16, v62
	v_and_b32_e32 v3, 16, v62
	s_waitcnt lgkmcnt(0)
	v_readfirstlane_b32 s34, v4
	s_cmp_eq_u32 s34, 0
	s_cselect_b64 s[34:35], -1, 0
	s_and_b64 s[34:35], vcc, s[34:35]
	v_cmp_ne_u32_e32 vcc, 0, v5
	s_and_b64 s[34:35], vcc, s[34:35]
	s_and_saveexec_b64 vcc, s[34:35]
	s_cbranch_execz .LBB2_224
; %bb.223:                              ;   in Loop: Header=BB2_199 Depth=2
	v_mov_b32_e32 v3, 1
	s_waitcnt vmcnt(0)
	buffer_wbinvl1_vol
.LBB2_224:                              ;   in Loop: Header=BB2_199 Depth=2
	s_or_b64 exec, exec, vcc
	s_andn2_saveexec_b64 s[26:27], s[26:27]
	s_cbranch_execnz .LBB2_246
.LBB2_225:                              ;   in Loop: Header=BB2_199 Depth=2
	s_or_b64 exec, exec, s[26:27]
	v_cmp_ne_u32_e32 vcc, 0, v3
	s_and_saveexec_b64 s[26:27], vcc
	s_cbranch_execz .LBB2_198
	s_branch .LBB2_264
.LBB2_226:                              ;   in Loop: Header=BB2_199 Depth=2
	s_or_b64 exec, exec, s[34:35]
	s_and_saveexec_b64 s[26:27], s[10:11]
	s_cbranch_execz .LBB2_221
.LBB2_227:                              ;   in Loop: Header=BB2_199 Depth=2
	s_and_saveexec_b64 vcc, s[52:53]
	s_xor_b64 s[34:35], exec, vcc
	s_cbranch_execz .LBB2_242
; %bb.228:                              ;   in Loop: Header=BB2_199 Depth=2
	s_and_saveexec_b64 s[36:37], s[16:17]
	s_cbranch_execz .LBB2_241
; %bb.229:                              ;   in Loop: Header=BB2_199 Depth=2
	s_mov_b64 s[40:41], exec
	v_mbcnt_lo_u32_b32 v3, s40, 0
	v_mbcnt_hi_u32_b32 v3, s41, v3
	v_cmp_eq_u32_e32 vcc, 0, v3
	s_waitcnt vmcnt(0) lgkmcnt(0)
	buffer_wbinvl1_vol
	s_and_saveexec_b64 s[38:39], vcc
	s_cbranch_execz .LBB2_231
; %bb.230:                              ;   in Loop: Header=BB2_199 Depth=2
	s_bcnt1_i32_b64 vcc_lo, s[40:41]
	v_mov_b32_e32 v4, vcc_lo
	v_mov_b32_e32 v5, v52
	ds_add_u64 v0, v[4:5]
	s_trap 2
.LBB2_231:                              ;   in Loop: Header=BB2_199 Depth=2
	s_or_b64 exec, exec, s[38:39]
	s_trap 2
	ds_read_b64 v[4:5], v0
	v_add_co_u32_e32 v48, vcc, v48, v54
	v_addc_co_u32_e32 v49, vcc, 0, v49, vcc
	s_waitcnt lgkmcnt(0)
	v_cmp_lt_u64_e32 vcc, v[4:5], v[48:49]
	s_and_saveexec_b64 s[38:39], vcc
	s_cbranch_execz .LBB2_240
; %bb.232:                              ;   in Loop: Header=BB2_199 Depth=2
	s_mov_b32 s64, 0
	s_mov_b64 s[40:41], 0
                                        ; implicit-def: $sgpr42_sgpr43
                                        ; implicit-def: $sgpr44_sgpr45
	s_branch .LBB2_234
.LBB2_233:                              ;   in Loop: Header=BB2_234 Depth=3
	s_or_b64 exec, exec, s[62:63]
	s_and_b64 vcc, exec, vcc
	s_or_b64 s[40:41], vcc, s[40:41]
	s_andn2_b64 vcc, s[42:43], exec
	s_and_b64 s[42:43], s[44:45], exec
	s_or_b64 s[42:43], vcc, s[42:43]
	s_andn2_b64 exec, exec, s[40:41]
	s_cbranch_execz .LBB2_238
.LBB2_234:                              ;   Parent Loop BB2_47 Depth=1
                                        ;     Parent Loop BB2_199 Depth=2
                                        ; =>    This Inner Loop Header: Depth=3
	s_add_i32 s64, s64, 1
	s_cmpk_lg_i32 s64, 0x2710
	s_cselect_b64 s[60:61], -1, 0
	s_and_b64 vcc, exec, s[60:61]
                                        ; implicit-def: $sgpr62_sgpr63
	s_cbranch_vccnz .LBB2_236
; %bb.235:                              ;   in Loop: Header=BB2_234 Depth=3
	s_trap 2
	ds_read_b64 v[4:5], v0
	s_andn2_b64 s[60:61], s[60:61], exec
	s_mov_b32 s64, 0
	s_mov_b64 s[62:63], -1
	s_waitcnt lgkmcnt(0)
	flat_load_dword v3, v[4:5] glc
	s_waitcnt vmcnt(0) lgkmcnt(0)
	buffer_invl2
	buffer_wbinvl1_vol
	v_cmp_eq_u32_e32 vcc, 0, v3
	s_and_b64 vcc, vcc, exec
	s_or_b64 s[60:61], s[60:61], vcc
.LBB2_236:                              ;   in Loop: Header=BB2_234 Depth=3
	s_andn2_b64 s[44:45], s[44:45], exec
	s_and_b64 s[62:63], s[62:63], exec
	s_mov_b64 vcc, -1
	s_or_b64 s[44:45], s[44:45], s[62:63]
	s_and_saveexec_b64 s[62:63], s[60:61]
	s_cbranch_execz .LBB2_233
; %bb.237:                              ;   in Loop: Header=BB2_234 Depth=3
	s_sleep 1
	s_trap 2
	ds_read_b64 v[4:5], v0
	s_andn2_b64 s[44:45], s[44:45], exec
	s_waitcnt lgkmcnt(0)
	v_cmp_ge_u64_e32 vcc, v[4:5], v[48:49]
	s_orn2_b64 vcc, vcc, exec
	s_branch .LBB2_233
.LBB2_238:                              ;   in Loop: Header=BB2_199 Depth=2
	s_or_b64 exec, exec, s[40:41]
	s_and_saveexec_b64 vcc, s[42:43]
	s_xor_b64 vcc, exec, vcc
	s_cbranch_execz .LBB2_240
; %bb.239:                              ;   in Loop: Header=BB2_199 Depth=2
	ds_write_b32 v0, v26
	s_trap 2
.LBB2_240:                              ;   in Loop: Header=BB2_199 Depth=2
	s_or_b64 exec, exec, s[38:39]
	;;#ASMSTART
	s_wakeup
	;;#ASMEND
.LBB2_241:                              ;   in Loop: Header=BB2_199 Depth=2
	s_or_b64 exec, exec, s[36:37]
.LBB2_242:                              ;   in Loop: Header=BB2_199 Depth=2
	s_andn2_saveexec_b64 vcc, s[34:35]
	s_cbranch_execz .LBB2_244
; %bb.243:                              ;   in Loop: Header=BB2_199 Depth=2
	s_waitcnt vmcnt(0) lgkmcnt(0)
	buffer_wbinvl1_vol
	s_barrier
.LBB2_244:                              ;   in Loop: Header=BB2_199 Depth=2
	s_or_b64 exec, exec, vcc
	s_or_b64 exec, exec, s[26:27]
                                        ; implicit-def: $vgpr3
	s_and_saveexec_b64 s[26:27], s[24:25]
	s_xor_b64 s[26:27], exec, s[26:27]
	s_cbranch_execnz .LBB2_222
.LBB2_245:                              ;   in Loop: Header=BB2_199 Depth=2
	s_andn2_saveexec_b64 s[26:27], s[26:27]
	s_cbranch_execz .LBB2_225
.LBB2_246:                              ;   in Loop: Header=BB2_199 Depth=2
	s_and_saveexec_b64 vcc, s[52:53]
	s_xor_b64 s[34:35], exec, vcc
	s_cbranch_execz .LBB2_261
; %bb.247:                              ;   in Loop: Header=BB2_199 Depth=2
	s_and_saveexec_b64 s[36:37], s[16:17]
	s_cbranch_execz .LBB2_260
; %bb.248:                              ;   in Loop: Header=BB2_199 Depth=2
	s_mov_b64 s[40:41], exec
	v_mbcnt_lo_u32_b32 v3, s40, 0
	v_mbcnt_hi_u32_b32 v3, s41, v3
	v_cmp_eq_u32_e32 vcc, 0, v3
	;;#ASMSTART
	s_waitcnt lgkmcnt(0) vmcnt(0)
	;;#ASMEND
	s_and_saveexec_b64 s[38:39], vcc
	s_cbranch_execz .LBB2_250
; %bb.249:                              ;   in Loop: Header=BB2_199 Depth=2
	s_bcnt1_i32_b64 vcc_lo, s[40:41]
	v_mov_b32_e32 v4, vcc_lo
	v_mov_b32_e32 v5, v52
	ds_add_u64 v0, v[4:5]
	s_trap 2
.LBB2_250:                              ;   in Loop: Header=BB2_199 Depth=2
	s_or_b64 exec, exec, s[38:39]
	s_trap 2
	ds_read_b64 v[4:5], v0
	v_add_co_u32_e32 v48, vcc, v48, v54
	v_addc_co_u32_e32 v49, vcc, 0, v49, vcc
	s_waitcnt lgkmcnt(0)
	v_cmp_lt_u64_e32 vcc, v[4:5], v[48:49]
	s_and_saveexec_b64 s[38:39], vcc
	s_cbranch_execz .LBB2_259
; %bb.251:                              ;   in Loop: Header=BB2_199 Depth=2
	s_mov_b32 s64, 0
	s_mov_b64 s[40:41], 0
                                        ; implicit-def: $sgpr42_sgpr43
                                        ; implicit-def: $sgpr44_sgpr45
	s_branch .LBB2_253
.LBB2_252:                              ;   in Loop: Header=BB2_253 Depth=3
	s_or_b64 exec, exec, s[62:63]
	s_and_b64 vcc, exec, vcc
	s_or_b64 s[40:41], vcc, s[40:41]
	s_andn2_b64 vcc, s[42:43], exec
	s_and_b64 s[42:43], s[44:45], exec
	s_or_b64 s[42:43], vcc, s[42:43]
	s_andn2_b64 exec, exec, s[40:41]
	s_cbranch_execz .LBB2_257
.LBB2_253:                              ;   Parent Loop BB2_47 Depth=1
                                        ;     Parent Loop BB2_199 Depth=2
                                        ; =>    This Inner Loop Header: Depth=3
	s_add_i32 s64, s64, 1
	s_cmpk_lg_i32 s64, 0x2710
	s_cselect_b64 s[60:61], -1, 0
	s_and_b64 vcc, exec, s[60:61]
                                        ; implicit-def: $sgpr62_sgpr63
	s_cbranch_vccnz .LBB2_255
; %bb.254:                              ;   in Loop: Header=BB2_253 Depth=3
	s_trap 2
	ds_read_b64 v[4:5], v0
	s_andn2_b64 s[60:61], s[60:61], exec
	s_mov_b32 s64, 0
	s_mov_b64 s[62:63], -1
	s_waitcnt vmcnt(0) lgkmcnt(0)
	flat_load_dword v3, v[4:5] glc
	s_waitcnt vmcnt(0) lgkmcnt(0)
	buffer_invl2
	buffer_wbinvl1_vol
	v_cmp_eq_u32_e32 vcc, 0, v3
	s_and_b64 vcc, vcc, exec
	s_or_b64 s[60:61], s[60:61], vcc
.LBB2_255:                              ;   in Loop: Header=BB2_253 Depth=3
	s_andn2_b64 s[44:45], s[44:45], exec
	s_and_b64 s[62:63], s[62:63], exec
	s_mov_b64 vcc, -1
	s_or_b64 s[44:45], s[44:45], s[62:63]
	s_and_saveexec_b64 s[62:63], s[60:61]
	s_cbranch_execz .LBB2_252
; %bb.256:                              ;   in Loop: Header=BB2_253 Depth=3
	s_sleep 1
	s_trap 2
	ds_read_b64 v[4:5], v0
	s_andn2_b64 s[44:45], s[44:45], exec
	s_waitcnt lgkmcnt(0)
	v_cmp_ge_u64_e32 vcc, v[4:5], v[48:49]
	s_orn2_b64 vcc, vcc, exec
	s_branch .LBB2_252
.LBB2_257:                              ;   in Loop: Header=BB2_199 Depth=2
	s_or_b64 exec, exec, s[40:41]
	s_and_saveexec_b64 vcc, s[42:43]
	s_xor_b64 vcc, exec, vcc
	s_cbranch_execz .LBB2_259
; %bb.258:                              ;   in Loop: Header=BB2_199 Depth=2
	ds_write_b32 v0, v26
	s_trap 2
.LBB2_259:                              ;   in Loop: Header=BB2_199 Depth=2
	s_or_b64 exec, exec, s[38:39]
	;;#ASMSTART
	s_wakeup
	;;#ASMEND
.LBB2_260:                              ;   in Loop: Header=BB2_199 Depth=2
	s_or_b64 exec, exec, s[36:37]
.LBB2_261:                              ;   in Loop: Header=BB2_199 Depth=2
	s_andn2_saveexec_b64 vcc, s[34:35]
	s_cbranch_execz .LBB2_263
; %bb.262:                              ;   in Loop: Header=BB2_199 Depth=2
	;;#ASMSTART
	s_waitcnt lgkmcnt(0) vmcnt(0)
	;;#ASMEND
	s_barrier
.LBB2_263:                              ;   in Loop: Header=BB2_199 Depth=2
	s_or_b64 exec, exec, vcc
	v_and_b32_e32 v3, 16, v62
	s_or_b64 exec, exec, s[26:27]
	v_cmp_ne_u32_e32 vcc, 0, v3
	s_and_saveexec_b64 s[26:27], vcc
	s_cbranch_execz .LBB2_198
.LBB2_264:                              ;   in Loop: Header=BB2_199 Depth=2
	s_and_saveexec_b64 vcc, s[14:15]
	s_cbranch_execz .LBB2_197
; %bb.265:                              ;   in Loop: Header=BB2_199 Depth=2
	flat_store_dword v[46:47], v26
	s_branch .LBB2_197
.LBB2_266:                              ;   in Loop: Header=BB2_47 Depth=1
	s_or_b64 exec, exec, s[30:31]
.LBB2_267:                              ;   in Loop: Header=BB2_47 Depth=1
	s_or_b64 exec, exec, s[28:29]
	v_cndmask_b32_e64 v2, 0, 1, s[54:55]
	v_cmp_ne_u32_e64 s[26:27], 1, v2
	s_andn2_b64 vcc, exec, s[54:55]
	s_cbranch_vccnz .LBB2_493
; %bb.268:                              ;   in Loop: Header=BB2_47 Depth=1
	s_mov_b32 s68, 2
	v_accvgpr_write_b32 a22, v41
	s_branch .LBB2_271
.LBB2_269:                              ;   in Loop: Header=BB2_271 Depth=2
	s_or_b64 exec, exec, s[34:35]
.LBB2_270:                              ;   in Loop: Header=BB2_271 Depth=2
	s_or_b64 exec, exec, s[30:31]
	s_add_i32 s68, s68, 1
	s_cmp_eq_u32 s68, s72
	s_cbranch_scc1 .LBB2_492
.LBB2_271:                              ;   Parent Loop BB2_47 Depth=1
                                        ; =>  This Loop Header: Depth=2
                                        ;       Child Loop BB2_274 Depth 3
                                        ;         Child Loop BB2_282 Depth 4
                                        ;         Child Loop BB2_310 Depth 4
	;; [unrolled: 1-line block ×9, first 2 shown]
                                        ;       Child Loop BB2_420 Depth 3
                                        ;         Child Loop BB2_426 Depth 4
                                        ;         Child Loop BB2_466 Depth 4
	;; [unrolled: 1-line block ×3, first 2 shown]
	s_sub_i32 s28, s76, s68
	s_cmp_le_i32 s72, s28
	s_cselect_b32 s29, s72, 0
	s_sub_i32 s28, s28, s29
	v_accvgpr_read_b32 v8, a30
	s_ashr_i32 s29, s28, 31
	v_accvgpr_read_b32 v9, a31
	v_mul_lo_u32 v2, v8, s29
	v_mul_lo_u32 v3, v9, s28
	v_mad_u64_u32 v[4:5], s[28:29], v8, s28, 0
	v_add3_u32 v5, v5, v2, v3
	v_accvgpr_read_b32 v2, a32
	v_accvgpr_read_b32 v3, a33
	v_sub_co_u32_e32 v2, vcc, v2, v4
	v_subb_co_u32_e32 v3, vcc, v3, v5, vcc
	v_cmp_lt_i64_e32 vcc, v[8:9], v[2:3]
	v_cndmask_b32_e32 v3, v2, v8, vcc
	v_max_i32_e32 v18, 0, v3
	v_add_u32_e32 v2, 31, v18
	v_lshrrev_b32_e32 v2, 1, v2
	v_and_b32_e32 v2, 0x3ffffff0, v2
	v_cmp_lt_i32_e32 vcc, 0, v3
	v_max_i32_e32 v2, s79, v2
	s_and_b64 s[28:29], s[58:59], vcc
	v_mov_b32_e32 v3, 0
	v_mov_b32_e32 v8, 0
	s_and_saveexec_b64 s[30:31], s[28:29]
	s_cbranch_execz .LBB2_416
; %bb.272:                              ;   in Loop: Header=BB2_271 Depth=2
	s_mov_b32 s69, 1
	s_mov_b64 s[36:37], -1
	s_mov_b64 s[34:35], 0
	v_mov_b32_e32 v8, 0
	v_lshlrev_b64 v[10:11], 2, v[4:5]
	s_branch .LBB2_274
.LBB2_273:                              ;   in Loop: Header=BB2_274 Depth=3
	s_or_b64 exec, exec, s[28:29]
	v_add_u32_e32 v8, v2, v8
	v_cmp_ge_i32_e32 vcc, v8, v18
	s_xor_b64 s[28:29], s[36:37], -1
	s_or_b64 s[28:29], s[28:29], vcc
	s_and_b64 s[28:29], exec, s[28:29]
	s_or_b64 s[34:35], s[28:29], s[34:35]
	s_mov_b64 s[36:37], 0
	v_mov_b32_e32 v3, s69
	s_mov_b32 s69, 2
	s_andn2_b64 exec, exec, s[34:35]
	s_cbranch_execz .LBB2_417
.LBB2_274:                              ;   Parent Loop BB2_47 Depth=1
                                        ;     Parent Loop BB2_271 Depth=2
                                        ; =>    This Loop Header: Depth=3
                                        ;         Child Loop BB2_282 Depth 4
                                        ;         Child Loop BB2_310 Depth 4
	;; [unrolled: 1-line block ×9, first 2 shown]
	s_and_saveexec_b64 s[28:29], s[4:5]
	s_cbranch_execz .LBB2_276
; %bb.275:                              ;   in Loop: Header=BB2_274 Depth=3
	s_trap 2
	ds_read_b64 v[4:5], v0
	v_accvgpr_read_b32 v12, a34
	v_accvgpr_read_b32 v13, a35
	v_lshlrev_b64 v[12:13], 2, v[12:13]
	v_ashrrev_i32_e32 v9, 31, v8
	s_waitcnt lgkmcnt(0)
	v_add_co_u32_e32 v3, vcc, v4, v12
	v_addc_co_u32_e32 v4, vcc, v5, v13, vcc
	v_add_co_u32_e32 v3, vcc, v3, v10
	v_addc_co_u32_e32 v12, vcc, v4, v11, vcc
	v_lshlrev_b64 v[4:5], 2, v[8:9]
	v_add_co_u32_e32 v4, vcc, v3, v4
	v_addc_co_u32_e32 v5, vcc, v12, v5, vcc
	v_mov_b32_e32 v53, v52
	ds_write_b64 v0, v[4:5]
	ds_write_b64 v0, v[52:53]
.LBB2_276:                              ;   in Loop: Header=BB2_274 Depth=3
	s_or_b64 exec, exec, s[28:29]
	v_and_b32_e32 v3, 12, v62
	v_cmp_ne_u32_e32 vcc, 0, v3
	s_mov_b64 s[38:39], -1
	s_and_saveexec_b64 s[28:29], vcc
	s_cbranch_execz .LBB2_288
; %bb.277:                              ;   in Loop: Header=BB2_274 Depth=3
	v_and_b32_e32 v4, 8, v62
	v_add_co_u32_e32 v14, vcc, v50, v4
	v_addc_co_u32_e32 v15, vcc, 0, v51, vcc
	v_add_co_u32_e32 v12, vcc, 2, v32
	v_addc_co_u32_e32 v13, vcc, 0, v33, vcc
	v_cmp_lt_u64_e32 vcc, v[14:15], v[12:13]
	v_mov_b32_e32 v3, 1
	s_and_saveexec_b64 s[38:39], vcc
	s_cbranch_execz .LBB2_287
; %bb.278:                              ;   in Loop: Header=BB2_274 Depth=3
	s_mov_b64 s[40:41], 0
	v_mov_b32_e32 v3, 0
                                        ; implicit-def: $sgpr42_sgpr43
	s_branch .LBB2_282
.LBB2_279:                              ;   in Loop: Header=BB2_282 Depth=4
	s_or_b64 exec, exec, s[64:65]
	v_mov_b32_e32 v5, 0
	s_orn2_b64 s[62:63], s[62:63], exec
.LBB2_280:                              ;   in Loop: Header=BB2_282 Depth=4
	s_or_b64 exec, exec, s[60:61]
	s_andn2_b64 vcc, s[42:43], exec
	s_and_b64 s[42:43], s[62:63], exec
	s_or_b64 s[42:43], vcc, s[42:43]
	v_mov_b32_e32 v3, v5
.LBB2_281:                              ;   in Loop: Header=BB2_282 Depth=4
	s_or_b64 exec, exec, s[44:45]
	s_waitcnt vmcnt(0) lgkmcnt(0)
	v_add_co_u32_e32 v14, vcc, v50, v4
	v_addc_co_u32_e32 v15, vcc, 0, v51, vcc
	v_cmp_ge_u64_e32 vcc, v[14:15], v[12:13]
	s_xor_b64 s[44:45], s[42:43], -1
	s_or_b64 vcc, s[44:45], vcc
	s_and_b64 vcc, exec, vcc
	s_or_b64 s[40:41], vcc, s[40:41]
	s_andn2_b64 exec, exec, s[40:41]
	s_cbranch_execz .LBB2_286
.LBB2_282:                              ;   Parent Loop BB2_47 Depth=1
                                        ;     Parent Loop BB2_271 Depth=2
                                        ;       Parent Loop BB2_274 Depth=3
                                        ; =>      This Inner Loop Header: Depth=4
	s_sleep 1
	flat_load_dwordx2 v[50:51], v[34:35] glc
	v_and_b32_e32 v5, 64, v62
	v_cmp_eq_u32_e32 vcc, 0, v5
	s_andn2_b64 s[42:43], s[42:43], exec
	s_and_saveexec_b64 s[44:45], vcc
	s_cbranch_execz .LBB2_281
; %bb.283:                              ;   in Loop: Header=BB2_282 Depth=4
	v_add_u32_e32 v5, 1, v3
	v_cmp_lt_i32_e32 vcc, s83, v3
	s_mov_b64 s[62:63], -1
	s_and_saveexec_b64 s[60:61], vcc
	s_cbranch_execz .LBB2_280
; %bb.284:                              ;   in Loop: Header=BB2_282 Depth=4
	s_trap 2
	ds_read_b64 v[14:15], v0
	s_waitcnt vmcnt(0) lgkmcnt(0)
	flat_load_dword v3, v[14:15] glc
	s_waitcnt vmcnt(0) lgkmcnt(0)
	buffer_invl2
	buffer_wbinvl1_vol
	v_cmp_ne_u32_e32 vcc, 0, v3
	s_and_saveexec_b64 s[64:65], vcc
	s_cbranch_execz .LBB2_279
; %bb.285:                              ;   in Loop: Header=BB2_282 Depth=4
	v_or_b32_e32 v62, 64, v62
	s_xor_b64 s[62:63], exec, -1
	ds_write_b32 v0, v3
	s_trap 2
	s_branch .LBB2_279
.LBB2_286:                              ;   in Loop: Header=BB2_274 Depth=3
	s_or_b64 exec, exec, s[40:41]
	v_and_b32_e32 v3, 12, v62
.LBB2_287:                              ;   in Loop: Header=BB2_274 Depth=3
	s_or_b64 exec, exec, s[38:39]
	v_cmp_eq_u32_e32 vcc, 0, v3
	s_orn2_b64 s[38:39], vcc, exec
	;;#ASMSTART
	s_wakeup
	;;#ASMEND
.LBB2_288:                              ;   in Loop: Header=BB2_274 Depth=3
	s_or_b64 exec, exec, s[28:29]
	v_sub_u32_e32 v3, v18, v8
	s_xor_b64 s[28:29], s[38:39], -1
	v_min_i32_e32 v2, v2, v3
	s_and_saveexec_b64 s[38:39], s[28:29]
	s_cbranch_execz .LBB2_302
; %bb.289:                              ;   in Loop: Header=BB2_274 Depth=3
	v_and_b32_e32 v3, 0x108, v62
	v_cmp_ne_u32_e32 vcc, s84, v3
	v_and_b32_e32 v4, 7, v32
	s_and_saveexec_b64 s[28:29], vcc
	s_xor_b64 s[28:29], exec, s[28:29]
                                        ; implicit-def: $vgpr12_vgpr13
; %bb.290:                              ;   in Loop: Header=BB2_274 Depth=3
	v_mov_b32_e32 v13, v52
; %bb.291:                              ;   in Loop: Header=BB2_274 Depth=3
	s_andn2_saveexec_b64 s[28:29], s[28:29]
	s_cbranch_execz .LBB2_293
; %bb.292:                              ;   in Loop: Header=BB2_274 Depth=3
	v_ashrrev_i32_e32 v3, 31, v2
	v_mov_b32_e32 v13, v52
	v_mad_u64_u32 v[14:15], vcc, v4, 24, v[38:39]
	v_lshlrev_b64 v[16:17], 2, v[2:3]
	flat_store_dwordx2 v[14:15], v[16:17] offset:8
.LBB2_293:                              ;   in Loop: Header=BB2_274 Depth=3
	s_or_b64 exec, exec, s[28:29]
	v_and_b32_e32 v3, 0x100, v62
	v_cmp_ne_u32_e32 vcc, 0, v3
	s_mov_b64 s[28:29], -1
                                        ; implicit-def: $vgpr14_vgpr15
	s_and_saveexec_b64 s[40:41], vcc
	s_cbranch_execz .LBB2_297
; %bb.294:                              ;   in Loop: Header=BB2_274 Depth=3
	v_mad_u64_u32 v[16:17], s[28:29], v4, 24, v[38:39]
	v_mov_b32_e32 v12, v17
	v_mad_u64_u32 v[14:15], s[28:29], v13, 24, v[12:13]
	v_mov_b32_e32 v17, v14
	flat_load_dword v3, v[16:17]
                                        ; implicit-def: $vgpr14_vgpr15
	s_waitcnt vmcnt(0) lgkmcnt(0)
	v_cmp_ne_u32_e32 vcc, 1, v3
	v_cmp_eq_u32_e64 s[28:29], 1, v3
	s_and_saveexec_b64 s[42:43], s[28:29]
	s_cbranch_execz .LBB2_296
; %bb.295:                              ;   in Loop: Header=BB2_274 Depth=3
	flat_load_dword v14, v[16:17] offset:4 glc
	s_waitcnt vmcnt(0) lgkmcnt(0)
	v_ashrrev_i32_e32 v15, 31, v14
	v_lshrrev_b64 v[14:15], 2, v[14:15]
.LBB2_296:                              ;   in Loop: Header=BB2_274 Depth=3
	s_or_b64 exec, exec, s[42:43]
	s_orn2_b64 s[28:29], vcc, exec
.LBB2_297:                              ;   in Loop: Header=BB2_274 Depth=3
	s_or_b64 exec, exec, s[40:41]
	s_and_saveexec_b64 vcc, s[28:29]
; %bb.298:                              ;   in Loop: Header=BB2_274 Depth=3
	v_mul_lo_u32 v3, v13, v30
	v_mul_lo_u32 v5, v4, v45
	v_mad_u64_u32 v[14:15], s[28:29], v4, v30, 0
	v_add3_u32 v15, v15, v5, v3
; %bb.299:                              ;   in Loop: Header=BB2_274 Depth=3
	s_or_b64 exec, exec, vcc
	v_lshlrev_b64 v[4:5], 2, v[14:15]
	v_add_co_u32_e32 v4, vcc, v36, v4
	v_addc_co_u32_e32 v5, vcc, v37, v5, vcc
	v_and_b32_e32 v3, 0x2000, v62
	v_cmp_ne_u32_e32 vcc, 0, v3
	s_trap 2
	ds_write_b64 v0, v[4:5]
	s_and_saveexec_b64 s[28:29], vcc
	s_cbranch_execz .LBB2_301
; %bb.300:                              ;   in Loop: Header=BB2_274 Depth=3
	ds_read_b64 v[4:5], v0 offset:584
	s_waitcnt lgkmcnt(0)
	v_add_co_u32_e32 v4, vcc, 1, v4
	v_addc_co_u32_e32 v5, vcc, 0, v5, vcc
	ds_write_b64 v0, v[4:5] offset:584
.LBB2_301:                              ;   in Loop: Header=BB2_274 Depth=3
	s_or_b64 exec, exec, s[28:29]
	v_add_co_u32_e32 v32, vcc, 2, v32
	v_addc_co_u32_e32 v33, vcc, 0, v33, vcc
.LBB2_302:                              ;   in Loop: Header=BB2_274 Depth=3
	s_or_b64 exec, exec, s[38:39]
	s_and_saveexec_b64 s[28:29], s[10:11]
	s_cbranch_execz .LBB2_321
; %bb.303:                              ;   in Loop: Header=BB2_274 Depth=3
	s_and_saveexec_b64 vcc, s[52:53]
	s_xor_b64 s[38:39], exec, vcc
	s_cbranch_execz .LBB2_318
; %bb.304:                              ;   in Loop: Header=BB2_274 Depth=3
	s_and_saveexec_b64 s[40:41], s[16:17]
	s_cbranch_execz .LBB2_317
; %bb.305:                              ;   in Loop: Header=BB2_274 Depth=3
	s_mov_b64 s[44:45], exec
	v_mbcnt_lo_u32_b32 v3, s44, 0
	v_mbcnt_hi_u32_b32 v3, s45, v3
	v_cmp_eq_u32_e32 vcc, 0, v3
	s_waitcnt vmcnt(0) lgkmcnt(0)
	buffer_wbinvl1_vol
	s_and_saveexec_b64 s[42:43], vcc
	s_cbranch_execz .LBB2_307
; %bb.306:                              ;   in Loop: Header=BB2_274 Depth=3
	s_bcnt1_i32_b64 vcc_lo, s[44:45]
	v_mov_b32_e32 v4, vcc_lo
	v_mov_b32_e32 v5, v52
	ds_add_u64 v0, v[4:5]
	s_trap 2
.LBB2_307:                              ;   in Loop: Header=BB2_274 Depth=3
	s_or_b64 exec, exec, s[42:43]
	s_trap 2
	ds_read_b64 v[4:5], v0
	v_add_co_u32_e32 v48, vcc, v48, v54
	v_addc_co_u32_e32 v49, vcc, 0, v49, vcc
	s_waitcnt lgkmcnt(0)
	v_cmp_lt_u64_e32 vcc, v[4:5], v[48:49]
	s_and_saveexec_b64 s[42:43], vcc
	s_cbranch_execz .LBB2_316
; %bb.308:                              ;   in Loop: Header=BB2_274 Depth=3
	s_mov_b32 s70, 0
	s_mov_b64 s[44:45], 0
                                        ; implicit-def: $sgpr60_sgpr61
                                        ; implicit-def: $sgpr62_sgpr63
	s_branch .LBB2_310
.LBB2_309:                              ;   in Loop: Header=BB2_310 Depth=4
	s_or_b64 exec, exec, s[66:67]
	s_and_b64 vcc, exec, vcc
	s_or_b64 s[44:45], vcc, s[44:45]
	s_andn2_b64 vcc, s[60:61], exec
	s_and_b64 s[60:61], s[62:63], exec
	s_or_b64 s[60:61], vcc, s[60:61]
	s_andn2_b64 exec, exec, s[44:45]
	s_cbranch_execz .LBB2_314
.LBB2_310:                              ;   Parent Loop BB2_47 Depth=1
                                        ;     Parent Loop BB2_271 Depth=2
                                        ;       Parent Loop BB2_274 Depth=3
                                        ; =>      This Inner Loop Header: Depth=4
	s_add_i32 s70, s70, 1
	s_cmpk_lg_i32 s70, 0x2710
	s_cselect_b64 s[64:65], -1, 0
	s_and_b64 vcc, exec, s[64:65]
                                        ; implicit-def: $sgpr66_sgpr67
	s_cbranch_vccnz .LBB2_312
; %bb.311:                              ;   in Loop: Header=BB2_310 Depth=4
	s_trap 2
	ds_read_b64 v[4:5], v0
	s_andn2_b64 s[64:65], s[64:65], exec
	s_mov_b32 s70, 0
	s_mov_b64 s[66:67], -1
	s_waitcnt lgkmcnt(0)
	flat_load_dword v3, v[4:5] glc
	s_waitcnt vmcnt(0) lgkmcnt(0)
	buffer_invl2
	buffer_wbinvl1_vol
	v_cmp_eq_u32_e32 vcc, 0, v3
	s_and_b64 vcc, vcc, exec
	s_or_b64 s[64:65], s[64:65], vcc
.LBB2_312:                              ;   in Loop: Header=BB2_310 Depth=4
	s_andn2_b64 s[62:63], s[62:63], exec
	s_and_b64 s[66:67], s[66:67], exec
	s_mov_b64 vcc, -1
	s_or_b64 s[62:63], s[62:63], s[66:67]
	s_and_saveexec_b64 s[66:67], s[64:65]
	s_cbranch_execz .LBB2_309
; %bb.313:                              ;   in Loop: Header=BB2_310 Depth=4
	s_sleep 1
	s_trap 2
	ds_read_b64 v[4:5], v0
	s_andn2_b64 s[62:63], s[62:63], exec
	s_waitcnt lgkmcnt(0)
	v_cmp_ge_u64_e32 vcc, v[4:5], v[48:49]
	s_orn2_b64 vcc, vcc, exec
	s_branch .LBB2_309
.LBB2_314:                              ;   in Loop: Header=BB2_274 Depth=3
	s_or_b64 exec, exec, s[44:45]
	s_and_saveexec_b64 vcc, s[60:61]
	s_xor_b64 vcc, exec, vcc
	s_cbranch_execz .LBB2_316
; %bb.315:                              ;   in Loop: Header=BB2_274 Depth=3
	ds_write_b32 v0, v26
	s_trap 2
.LBB2_316:                              ;   in Loop: Header=BB2_274 Depth=3
	s_or_b64 exec, exec, s[42:43]
	;;#ASMSTART
	s_wakeup
	;;#ASMEND
.LBB2_317:                              ;   in Loop: Header=BB2_274 Depth=3
	s_or_b64 exec, exec, s[40:41]
.LBB2_318:                              ;   in Loop: Header=BB2_274 Depth=3
	s_andn2_saveexec_b64 vcc, s[38:39]
	s_cbranch_execz .LBB2_320
; %bb.319:                              ;   in Loop: Header=BB2_274 Depth=3
	s_waitcnt vmcnt(0) lgkmcnt(0)
	buffer_wbinvl1_vol
	s_barrier
.LBB2_320:                              ;   in Loop: Header=BB2_274 Depth=3
	s_or_b64 exec, exec, vcc
.LBB2_321:                              ;   in Loop: Header=BB2_274 Depth=3
	s_or_b64 exec, exec, s[28:29]
	s_trap 2
	ds_read_b32 v4, v0
	v_and_b32_e32 v3, 0x4000, v62
	v_cmp_ne_u32_e32 vcc, 0, v3
	s_xor_b64 s[28:29], s[6:7], -1
	s_and_b64 vcc, s[28:29], vcc
	s_and_saveexec_b64 s[28:29], vcc
	s_cbranch_execz .LBB2_340
; %bb.322:                              ;   in Loop: Header=BB2_274 Depth=3
	s_and_saveexec_b64 vcc, s[52:53]
	s_xor_b64 s[38:39], exec, vcc
	s_cbranch_execz .LBB2_337
; %bb.323:                              ;   in Loop: Header=BB2_274 Depth=3
	s_and_saveexec_b64 s[40:41], s[16:17]
	s_cbranch_execz .LBB2_336
; %bb.324:                              ;   in Loop: Header=BB2_274 Depth=3
	s_mov_b64 s[44:45], exec
	v_mbcnt_lo_u32_b32 v3, s44, 0
	v_mbcnt_hi_u32_b32 v3, s45, v3
	v_cmp_eq_u32_e32 vcc, 0, v3
	s_waitcnt vmcnt(0) lgkmcnt(0)
	buffer_wbinvl1_vol
	s_and_saveexec_b64 s[42:43], vcc
	s_cbranch_execz .LBB2_326
; %bb.325:                              ;   in Loop: Header=BB2_274 Depth=3
	s_bcnt1_i32_b64 vcc_lo, s[44:45]
	v_mov_b32_e32 v12, vcc_lo
	v_mov_b32_e32 v13, v52
	ds_add_u64 v0, v[12:13]
	s_trap 2
.LBB2_326:                              ;   in Loop: Header=BB2_274 Depth=3
	s_or_b64 exec, exec, s[42:43]
	s_trap 2
	ds_read_b64 v[12:13], v0
	v_add_co_u32_e32 v48, vcc, v48, v54
	v_addc_co_u32_e32 v49, vcc, 0, v49, vcc
	s_waitcnt lgkmcnt(0)
	v_cmp_lt_u64_e32 vcc, v[12:13], v[48:49]
	s_and_saveexec_b64 s[42:43], vcc
	s_cbranch_execz .LBB2_335
; %bb.327:                              ;   in Loop: Header=BB2_274 Depth=3
	s_mov_b32 s70, 0
	s_mov_b64 s[44:45], 0
                                        ; implicit-def: $sgpr60_sgpr61
                                        ; implicit-def: $sgpr62_sgpr63
	s_branch .LBB2_329
.LBB2_328:                              ;   in Loop: Header=BB2_329 Depth=4
	s_or_b64 exec, exec, s[66:67]
	s_and_b64 vcc, exec, vcc
	s_or_b64 s[44:45], vcc, s[44:45]
	s_andn2_b64 vcc, s[60:61], exec
	s_and_b64 s[60:61], s[62:63], exec
	s_or_b64 s[60:61], vcc, s[60:61]
	s_andn2_b64 exec, exec, s[44:45]
	s_cbranch_execz .LBB2_333
.LBB2_329:                              ;   Parent Loop BB2_47 Depth=1
                                        ;     Parent Loop BB2_271 Depth=2
                                        ;       Parent Loop BB2_274 Depth=3
                                        ; =>      This Inner Loop Header: Depth=4
	s_add_i32 s70, s70, 1
	s_cmpk_lg_i32 s70, 0x2710
	s_cselect_b64 s[64:65], -1, 0
	s_and_b64 vcc, exec, s[64:65]
                                        ; implicit-def: $sgpr66_sgpr67
	s_cbranch_vccnz .LBB2_331
; %bb.330:                              ;   in Loop: Header=BB2_329 Depth=4
	s_trap 2
	ds_read_b64 v[12:13], v0
	s_andn2_b64 s[64:65], s[64:65], exec
	s_mov_b32 s70, 0
	s_mov_b64 s[66:67], -1
	s_waitcnt lgkmcnt(0)
	flat_load_dword v3, v[12:13] glc
	s_waitcnt vmcnt(0) lgkmcnt(0)
	buffer_invl2
	buffer_wbinvl1_vol
	v_cmp_eq_u32_e32 vcc, 0, v3
	s_and_b64 vcc, vcc, exec
	s_or_b64 s[64:65], s[64:65], vcc
.LBB2_331:                              ;   in Loop: Header=BB2_329 Depth=4
	s_andn2_b64 s[62:63], s[62:63], exec
	s_and_b64 s[66:67], s[66:67], exec
	s_mov_b64 vcc, -1
	s_or_b64 s[62:63], s[62:63], s[66:67]
	s_and_saveexec_b64 s[66:67], s[64:65]
	s_cbranch_execz .LBB2_328
; %bb.332:                              ;   in Loop: Header=BB2_329 Depth=4
	s_sleep 1
	s_trap 2
	ds_read_b64 v[12:13], v0
	s_andn2_b64 s[62:63], s[62:63], exec
	s_waitcnt lgkmcnt(0)
	v_cmp_ge_u64_e32 vcc, v[12:13], v[48:49]
	s_orn2_b64 vcc, vcc, exec
	s_branch .LBB2_328
.LBB2_333:                              ;   in Loop: Header=BB2_274 Depth=3
	s_or_b64 exec, exec, s[44:45]
	s_and_saveexec_b64 vcc, s[60:61]
	s_xor_b64 vcc, exec, vcc
	s_cbranch_execz .LBB2_335
; %bb.334:                              ;   in Loop: Header=BB2_274 Depth=3
	ds_write_b32 v0, v26
	s_trap 2
.LBB2_335:                              ;   in Loop: Header=BB2_274 Depth=3
	s_or_b64 exec, exec, s[42:43]
	;;#ASMSTART
	s_wakeup
	;;#ASMEND
.LBB2_336:                              ;   in Loop: Header=BB2_274 Depth=3
	s_or_b64 exec, exec, s[40:41]
.LBB2_337:                              ;   in Loop: Header=BB2_274 Depth=3
	s_andn2_saveexec_b64 vcc, s[38:39]
	s_cbranch_execz .LBB2_339
; %bb.338:                              ;   in Loop: Header=BB2_274 Depth=3
	s_waitcnt vmcnt(0) lgkmcnt(0)
	buffer_wbinvl1_vol
	s_barrier
.LBB2_339:                              ;   in Loop: Header=BB2_274 Depth=3
	s_or_b64 exec, exec, vcc
.LBB2_340:                              ;   in Loop: Header=BB2_274 Depth=3
	s_or_b64 exec, exec, s[28:29]
	s_trap 2
	ds_read_b64 v[12:13], v0
	v_mov_b32_e32 v3, 0
	s_waitcnt lgkmcnt(0)
	v_readfirstlane_b32 s28, v12
	v_readfirstlane_b32 s29, v13
	s_cmp_eq_u64 s[28:29], 0
	s_cselect_b64 s[28:29], -1, 0
	s_or_b64 s[28:29], s[28:29], s[28:29]
	s_and_b64 vcc, exec, s[28:29]
	s_cbranch_vccnz .LBB2_360
; %bb.341:                              ;   in Loop: Header=BB2_274 Depth=3
	s_mov_b64 s[38:39], -1
	s_and_saveexec_b64 s[28:29], s[22:23]
	s_cbranch_execz .LBB2_343
; %bb.342:                              ;   in Loop: Header=BB2_274 Depth=3
	ds_read_b32 v3, v0 offset:720
	s_waitcnt lgkmcnt(0)
	v_and_b32_e32 v3, 15, v3
	v_cmp_eq_u32_e32 vcc, 0, v3
	s_orn2_b64 s[38:39], vcc, exec
.LBB2_343:                              ;   in Loop: Header=BB2_274 Depth=3
	s_or_b64 exec, exec, s[28:29]
	s_and_saveexec_b64 s[28:29], s[20:21]
	s_cbranch_execz .LBB2_345
; %bb.344:                              ;   in Loop: Header=BB2_274 Depth=3
	ds_read_b32 v3, v0 offset:784
	s_waitcnt lgkmcnt(0)
	v_and_b32_e32 v3, 15, v3
	v_cmp_eq_u32_e32 vcc, 0, v3
	s_and_b64 vcc, s[38:39], vcc
	s_andn2_b64 s[38:39], s[38:39], exec
	s_and_b64 vcc, vcc, exec
	s_or_b64 s[38:39], s[38:39], vcc
.LBB2_345:                              ;   in Loop: Header=BB2_274 Depth=3
	s_or_b64 exec, exec, s[28:29]
	v_cmp_eq_u32_e32 vcc, 0, v4
	v_cndmask_b32_e32 v3, 0, v2, vcc
	s_xor_b64 vcc, s[38:39], -1
	v_cndmask_b32_e64 v4, 0, 1, vcc
	v_mov_b32_e32 v16, 0
	v_lshlrev_b32_e32 v9, 2, v3
	s_mov_b64 s[28:29], -1
	;;#ASMSTART
	;;#ASMEND
	v_cmp_ne_u32_e32 vcc, 0, v4
	s_cbranch_vccz .LBB2_361
; %bb.346:                              ;   in Loop: Header=BB2_274 Depth=3
	v_mov_b32_e32 v17, v41
	v_mov_b32_e32 v4, v57
	s_and_saveexec_b64 s[38:39], s[28:29]
	s_cbranch_execz .LBB2_374
.LBB2_347:                              ;   in Loop: Header=BB2_274 Depth=3
	v_ashrrev_i32_e32 v12, 31, v9
	v_add_u32_sdwa v12, v9, v12 dst_sel:DWORD dst_unused:UNUSED_PAD src0_sel:DWORD src1_sel:BYTE_3
	v_and_b32_e32 v19, 0xffffff00, v12
	v_lshlrev_b32_e32 v5, 2, v17
	v_ashrrev_i32_e32 v13, 8, v12
	v_sub_u32_e32 v20, v9, v19
	v_lshl_add_u32 v5, v4, 8, v5
	v_sub_u32_e32 v4, v13, v4
	v_cmp_lt_i32_e32 vcc, 3, v20
	v_sub_u32_e32 v22, v9, v5
	v_addc_co_u32_e64 v21, s[28:29], 0, v4, vcc
	v_cmp_lt_i32_e64 s[28:29], 3, v22
	s_and_saveexec_b64 s[40:41], s[28:29]
	s_cbranch_execz .LBB2_351
; %bb.348:                              ;   in Loop: Header=BB2_274 Depth=3
	s_trap 2
	ds_read_b128 v[12:15], v0
	ds_read_b64 v[24:25], v0
	v_add_u32_e32 v23, v5, v16
	v_ashrrev_i32_e32 v26, 31, v23
	s_mov_b64 s[42:43], 0
	s_waitcnt lgkmcnt(0)
	v_add_co_u32_e64 v4, s[28:29], v12, v23
	v_addc_co_u32_e64 v5, s[28:29], v13, v26, s[28:29]
	v_add_co_u32_e64 v12, s[28:29], v14, v23
	v_addc_co_u32_e64 v13, s[28:29], v15, v26, s[28:29]
	v_add_co_u32_e64 v14, s[28:29], v24, v23
	v_addc_co_u32_e64 v15, s[28:29], v25, v26, s[28:29]
.LBB2_349:                              ;   Parent Loop BB2_47 Depth=1
                                        ;     Parent Loop BB2_271 Depth=2
                                        ;       Parent Loop BB2_274 Depth=3
                                        ; =>      This Inner Loop Header: Depth=4
	flat_load_dword v23, v[4:5] glc slc
	flat_load_dword v24, v[12:13] glc slc
	v_add_co_u32_e64 v4, s[28:29], v4, v61
	v_addc_co_u32_e64 v5, s[28:29], v5, v28, s[28:29]
	v_add_co_u32_e64 v12, s[28:29], v12, v61
	v_addc_co_u32_e64 v13, s[28:29], v13, v28, s[28:29]
	v_sub_u32_e32 v22, v22, v43
	v_cmp_gt_i32_e64 s[28:29], 4, v22
	s_or_b64 s[42:43], s[28:29], s[42:43]
	v_sub_u32_e32 v21, v21, v54
	s_waitcnt vmcnt(0) lgkmcnt(0)
	v_add_u32_e32 v23, v24, v23
	flat_store_dword v[14:15], v23 glc slc
	v_add_co_u32_e64 v14, s[28:29], v14, v61
	v_addc_co_u32_e64 v15, s[28:29], v15, v28, s[28:29]
	s_andn2_b64 exec, exec, s[42:43]
	s_cbranch_execnz .LBB2_349
; %bb.350:                              ;   in Loop: Header=BB2_274 Depth=3
	s_or_b64 exec, exec, s[42:43]
	v_accvgpr_read_b32 v27, a23
	v_mov_b32_e32 v26, 1
.LBB2_351:                              ;   in Loop: Header=BB2_274 Depth=3
	s_or_b64 exec, exec, s[40:41]
	v_and_b32_e32 v4, 3, v9
	v_cndmask_b32_e32 v5, v20, v4, vcc
	v_cmp_ne_u32_e64 s[28:29], 0, v5
	s_and_saveexec_b64 s[40:41], s[28:29]
	s_cbranch_execz .LBB2_355
; %bb.352:                              ;   in Loop: Header=BB2_274 Depth=3
	v_cmp_lt_i32_e64 s[28:29], 0, v21
	v_cndmask_b32_e64 v9, 0, v54, s[28:29]
	v_sub_u32_e32 v9, v9, v21
	v_lshl_add_u32 v9, v9, 6, v17
	v_ashrrev_i32_e32 v12, 31, v9
	v_lshrrev_b32_e32 v12, 26, v12
	v_add_u32_e32 v12, v9, v12
	v_and_b32_e32 v13, 0x3fffffc0, v12
	v_lshlrev_b32_e32 v12, 2, v12
	v_sub_u32_e32 v9, v9, v13
	v_and_b32_e32 v12, 0xffffff00, v12
	v_lshl_add_u32 v12, v9, 2, v12
	v_sub_u32_e32 v9, v5, v12
	v_cmp_lt_i32_e64 s[28:29], 3, v9
	s_and_b64 exec, exec, s[28:29]
	s_cbranch_execz .LBB2_355
; %bb.353:                              ;   in Loop: Header=BB2_274 Depth=3
	v_add_u32_e32 v5, v19, v16
	s_trap 2
	ds_read_b128 v[14:17], v0
	v_sub_u32_e32 v4, v20, v4
	ds_read_b64 v[20:21], v0
	v_cndmask_b32_e32 v4, 0, v4, vcc
	v_add3_u32 v19, v5, v4, v12
	v_ashrrev_i32_e32 v22, 31, v19
	s_waitcnt lgkmcnt(0)
	v_add_co_u32_e32 v4, vcc, v14, v19
	v_addc_co_u32_e32 v5, vcc, v15, v22, vcc
	v_add_co_u32_e32 v12, vcc, v16, v19
	v_addc_co_u32_e32 v13, vcc, v17, v22, vcc
	;; [unrolled: 2-line block ×3, first 2 shown]
	s_mov_b64 s[28:29], 0
.LBB2_354:                              ;   Parent Loop BB2_47 Depth=1
                                        ;     Parent Loop BB2_271 Depth=2
                                        ;       Parent Loop BB2_274 Depth=3
                                        ; =>      This Inner Loop Header: Depth=4
	flat_load_dword v16, v[4:5] glc slc
	flat_load_dword v17, v[12:13] glc slc
	v_add_co_u32_e32 v4, vcc, v4, v61
	v_addc_co_u32_e32 v5, vcc, v5, v28, vcc
	v_add_co_u32_e32 v12, vcc, v12, v61
	v_addc_co_u32_e32 v13, vcc, v13, v28, vcc
	v_sub_u32_e32 v9, v9, v43
	v_cmp_gt_i32_e32 vcc, 4, v9
	s_or_b64 s[28:29], vcc, s[28:29]
	s_waitcnt vmcnt(0) lgkmcnt(0)
	v_add_u32_e32 v16, v17, v16
	flat_store_dword v[14:15], v16 glc slc
	v_add_co_u32_e32 v14, vcc, v14, v61
	v_addc_co_u32_e32 v15, vcc, v15, v28, vcc
	s_andn2_b64 exec, exec, s[28:29]
	s_cbranch_execnz .LBB2_354
.LBB2_355:                              ;   in Loop: Header=BB2_274 Depth=3
	s_or_b64 exec, exec, s[40:41]
	v_accvgpr_read_b32 v20, a28
	v_accvgpr_read_b32 v21, a29
	s_or_b64 exec, exec, s[38:39]
	s_and_saveexec_b64 s[28:29], s[10:11]
	s_cbranch_execnz .LBB2_375
.LBB2_356:                              ;   in Loop: Header=BB2_274 Depth=3
	s_or_b64 exec, exec, s[28:29]
                                        ; implicit-def: $vgpr4
	s_and_saveexec_b64 s[28:29], s[24:25]
	s_xor_b64 s[38:39], exec, s[28:29]
	s_cbranch_execz .LBB2_393
.LBB2_357:                              ;   in Loop: Header=BB2_274 Depth=3
	v_cmp_lt_i32_e32 vcc, 0, v3
	v_and_b32_e32 v3, 16, v62
	v_cmp_ne_u32_e64 s[28:29], 0, v3
	v_and_b32_e32 v4, 16, v62
	s_and_b64 vcc, s[28:29], vcc
	s_and_saveexec_b64 s[28:29], vcc
	s_cbranch_execz .LBB2_359
; %bb.358:                              ;   in Loop: Header=BB2_274 Depth=3
	v_mov_b32_e32 v4, 1
	s_waitcnt vmcnt(0) lgkmcnt(0)
	buffer_wbinvl1_vol
.LBB2_359:                              ;   in Loop: Header=BB2_274 Depth=3
	s_or_b64 exec, exec, s[28:29]
	s_andn2_saveexec_b64 s[28:29], s[38:39]
	s_cbranch_execz .LBB2_412
	s_branch .LBB2_394
.LBB2_360:                              ;   in Loop: Header=BB2_274 Depth=3
	s_and_saveexec_b64 s[28:29], s[10:11]
	s_cbranch_execnz .LBB2_375
	s_branch .LBB2_356
.LBB2_361:                              ;   in Loop: Header=BB2_274 Depth=3
	v_ashrrev_i32_e32 v4, 31, v9
	v_lshrrev_b32_e32 v4, 21, v4
	v_add_u32_e32 v4, v9, v4
	v_ashrrev_i32_e32 v16, 11, v4
	v_sub_u32_e32 v20, v16, v57
	v_cmp_lt_i32_e32 vcc, 0, v20
	s_and_saveexec_b64 s[28:29], vcc
	s_cbranch_execz .LBB2_365
; %bb.362:                              ;   in Loop: Header=BB2_274 Depth=3
	s_trap 2
	ds_read_b128 v[12:15], v0
	ds_read_b64 v[22:23], v0
	v_accvgpr_read_b32 v24, a26
	v_accvgpr_read_b32 v17, a27
	v_mov_b32_e32 v19, v57
	s_waitcnt lgkmcnt(0)
	v_add_co_u32_e32 v4, vcc, v12, v24
	v_addc_co_u32_e32 v5, vcc, v13, v17, vcc
	v_add_co_u32_e32 v12, vcc, v14, v24
	v_addc_co_u32_e32 v13, vcc, v15, v17, vcc
	;; [unrolled: 2-line block ×3, first 2 shown]
	s_mov_b64 s[38:39], 0
.LBB2_363:                              ;   Parent Loop BB2_47 Depth=1
                                        ;     Parent Loop BB2_271 Depth=2
                                        ;       Parent Loop BB2_274 Depth=3
                                        ; =>      This Inner Loop Header: Depth=4
	global_load_dwordx4 v[22:25], v[12:13], off glc slc
	global_load_dwordx4 v[56:59], v[4:5], off glc slc
	global_load_dwordx4 v[38:41], v[4:5], off offset:1024 glc slc
	global_load_dwordx4 v[44:47], v[12:13], off offset:1024 glc slc
	v_add_co_u32_e32 v4, vcc, v4, v29
	v_addc_co_u32_e32 v5, vcc, v5, v55, vcc
	v_add_co_u32_e32 v12, vcc, v12, v29
	v_addc_co_u32_e32 v13, vcc, v13, v55, vcc
	v_sub_u32_e32 v20, v20, v54
	v_cmp_gt_i32_e32 vcc, 1, v20
	s_or_b64 s[38:39], vcc, s[38:39]
	s_waitcnt vmcnt(0)
	v_add_co_u32_e32 v17, vcc, 0, v56
	v_addc_co_u32_e32 v23, vcc, v23, v57, vcc
	v_add_co_u32_e32 v17, vcc, 0, v58
	v_addc_co_u32_e32 v25, vcc, v25, v59, vcc
	;; [unrolled: 2-line block ×3, first 2 shown]
	v_add_co_u32_e32 v17, vcc, 0, v40
	v_add_u32_e32 v22, v22, v56
	v_add_u32_e32 v24, v24, v58
	v_addc_co_u32_e32 v47, vcc, v47, v41, vcc
	v_add_u32_e32 v44, v44, v38
	v_add_u32_e32 v46, v46, v40
	global_store_dwordx4 v[14:15], v[22:25], off glc slc
	global_store_dwordx4 v[14:15], v[44:47], off offset:1024 glc slc
	v_add_co_u32_e32 v14, vcc, v14, v29
	v_addc_co_u32_e32 v15, vcc, v15, v55, vcc
	s_andn2_b64 exec, exec, s[38:39]
	s_cbranch_execnz .LBB2_363
; %bb.364:                              ;   in Loop: Header=BB2_274 Depth=3
	s_or_b64 exec, exec, s[38:39]
	v_accvgpr_read_b32 v39, a13
	v_accvgpr_read_b32 v47, a15
	;; [unrolled: 1-line block ×9, first 2 shown]
	v_mov_b32_e32 v57, v19
	v_accvgpr_read_b32 v41, a22
.LBB2_365:                              ;   in Loop: Header=BB2_274 Depth=3
	s_or_b64 exec, exec, s[28:29]
	v_lshlrev_b32_e32 v19, 11, v16
	v_cmp_ne_u32_e32 vcc, v9, v19
	s_mov_b64 s[28:29], 0
	v_mov_b32_e32 v16, 0
                                        ; implicit-def: $vgpr17
                                        ; implicit-def: $vgpr4
	s_and_saveexec_b64 s[38:39], vcc
	s_cbranch_execz .LBB2_373
; %bb.366:                              ;   in Loop: Header=BB2_274 Depth=3
	v_lshlrev_b32_e32 v4, 6, v20
	v_sub_u32_e32 v4, v41, v4
	v_ashrrev_i32_e32 v12, 31, v4
	v_lshrrev_b32_e32 v12, 26, v12
	v_add_u32_e32 v12, v4, v12
	v_sub_u32_e32 v5, v9, v19
	v_ashrrev_i32_e32 v13, 6, v12
	v_and_b32_e32 v12, 0xffffffc0, v12
	v_sub_u32_e32 v20, v4, v12
	v_ashrrev_i32_e32 v12, 31, v5
	v_lshrrev_b32_e32 v12, 22, v12
	v_add_u32_e32 v12, v5, v12
	v_and_b32_e32 v21, 0xfffffc00, v12
	v_lshlrev_b32_e32 v4, 4, v20
	v_sub_u32_e32 v23, v5, v21
	v_lshl_add_u32 v4, v13, 10, v4
	v_ashrrev_i32_e32 v14, 10, v12
	v_cmp_lt_i32_e32 vcc, 15, v23
	v_sub_u32_e32 v16, v5, v4
	v_addc_co_u32_e64 v5, s[28:29], 0, v14, vcc
	v_sub_u32_e32 v22, v5, v13
	v_cmp_lt_i32_e64 s[28:29], 15, v16
	s_and_saveexec_b64 s[40:41], s[28:29]
	s_cbranch_execz .LBB2_370
; %bb.367:                              ;   in Loop: Header=BB2_274 Depth=3
	s_trap 2
	ds_read_b128 v[12:15], v0
	ds_read_b64 v[24:25], v0
	v_add_u32_e32 v17, v4, v19
	v_ashrrev_i32_e32 v26, 31, v17
	s_mov_b64 s[42:43], 0
	s_waitcnt lgkmcnt(0)
	v_add_co_u32_e64 v4, s[28:29], v12, v17
	v_addc_co_u32_e64 v5, s[28:29], v13, v26, s[28:29]
	v_add_co_u32_e64 v12, s[28:29], v14, v17
	v_addc_co_u32_e64 v13, s[28:29], v15, v26, s[28:29]
	;; [unrolled: 2-line block ×3, first 2 shown]
.LBB2_368:                              ;   Parent Loop BB2_47 Depth=1
                                        ;     Parent Loop BB2_271 Depth=2
                                        ;       Parent Loop BB2_274 Depth=3
                                        ; =>      This Inner Loop Header: Depth=4
	global_load_dwordx4 v[24:27], v[4:5], off glc slc
	global_load_dwordx4 v[38:41], v[12:13], off glc slc
	v_add_co_u32_e64 v4, s[28:29], v4, v0
	v_addc_co_u32_e64 v5, s[28:29], v5, v60, s[28:29]
	v_add_co_u32_e64 v12, s[28:29], v12, v0
	v_addc_co_u32_e64 v13, s[28:29], v13, v60, s[28:29]
	v_sub_u32_e32 v16, v16, v42
	v_cmp_gt_i32_e64 s[28:29], 16, v16
	s_or_b64 s[42:43], s[28:29], s[42:43]
	v_sub_u32_e32 v22, v22, v54
	s_waitcnt vmcnt(0)
	v_add_co_u32_e64 v17, s[28:29], 0, v24
	v_addc_co_u32_e64 v39, s[28:29], v39, v25, s[28:29]
	v_add_co_u32_e64 v17, s[28:29], 0, v26
	v_add_u32_e32 v38, v38, v24
	v_add_u32_e32 v40, v40, v26
	v_addc_co_u32_e64 v41, s[28:29], v41, v27, s[28:29]
	global_store_dwordx4 v[14:15], v[38:41], off glc slc
	v_add_co_u32_e64 v14, s[28:29], v14, v0
	v_addc_co_u32_e64 v15, s[28:29], v15, v60, s[28:29]
	s_andn2_b64 exec, exec, s[42:43]
	s_cbranch_execnz .LBB2_368
; %bb.369:                              ;   in Loop: Header=BB2_274 Depth=3
	s_or_b64 exec, exec, s[42:43]
	v_accvgpr_read_b32 v39, a13
	v_accvgpr_read_b32 v38, a12
	v_accvgpr_read_b32 v40, a16
	v_accvgpr_read_b32 v27, a23
	v_accvgpr_read_b32 v41, a22
	v_mov_b32_e32 v26, 1
.LBB2_370:                              ;   in Loop: Header=BB2_274 Depth=3
	s_or_b64 exec, exec, s[40:41]
	v_and_b32_e32 v5, 12, v9
	v_cndmask_b32_e32 v9, v23, v5, vcc
	v_cmp_ne_u32_e64 s[28:29], 0, v9
	s_mov_b64 s[40:41], 0
	v_mov_b32_e32 v16, 0
                                        ; implicit-def: $vgpr17
                                        ; implicit-def: $vgpr4
	s_and_saveexec_b64 s[42:43], s[28:29]
	s_cbranch_execz .LBB2_372
; %bb.371:                              ;   in Loop: Header=BB2_274 Depth=3
	v_sub_u32_e32 v4, v23, v5
	v_cndmask_b32_e32 v4, 0, v4, vcc
	v_cmp_lt_i32_e32 vcc, 0, v22
	v_add3_u32 v16, v21, v19, v4
	v_cndmask_b32_e32 v4, 0, v54, vcc
	v_sub_u32_e32 v4, v4, v22
	v_lshl_add_u32 v5, v4, 6, v20
	v_ashrrev_i32_e32 v4, 31, v5
	v_lshrrev_b32_e32 v4, 26, v4
	v_add_u32_e32 v12, v5, v4
	v_ashrrev_i32_e32 v4, 6, v12
	v_and_b32_e32 v12, 0xffffffc0, v12
	s_mov_b64 s[40:41], exec
	v_sub_u32_e32 v17, v5, v12
.LBB2_372:                              ;   in Loop: Header=BB2_274 Depth=3
	s_or_b64 exec, exec, s[42:43]
	s_and_b64 s[28:29], s[40:41], exec
.LBB2_373:                              ;   in Loop: Header=BB2_274 Depth=3
	s_or_b64 exec, exec, s[38:39]
	v_accvgpr_read_b32 v20, a28
	v_accvgpr_read_b32 v21, a29
	s_and_saveexec_b64 s[38:39], s[28:29]
	s_cbranch_execnz .LBB2_347
.LBB2_374:                              ;   in Loop: Header=BB2_274 Depth=3
	s_or_b64 exec, exec, s[38:39]
	s_and_saveexec_b64 s[28:29], s[10:11]
	s_cbranch_execz .LBB2_356
.LBB2_375:                              ;   in Loop: Header=BB2_274 Depth=3
	s_and_saveexec_b64 vcc, s[52:53]
	s_xor_b64 s[38:39], exec, vcc
	s_cbranch_execz .LBB2_390
; %bb.376:                              ;   in Loop: Header=BB2_274 Depth=3
	s_and_saveexec_b64 s[40:41], s[16:17]
	s_cbranch_execz .LBB2_389
; %bb.377:                              ;   in Loop: Header=BB2_274 Depth=3
	s_mov_b64 s[44:45], exec
	v_mbcnt_lo_u32_b32 v4, s44, 0
	v_mbcnt_hi_u32_b32 v4, s45, v4
	v_cmp_eq_u32_e32 vcc, 0, v4
	s_waitcnt vmcnt(0) lgkmcnt(0)
	buffer_wbinvl1_vol
	s_and_saveexec_b64 s[42:43], vcc
	s_cbranch_execz .LBB2_379
; %bb.378:                              ;   in Loop: Header=BB2_274 Depth=3
	s_bcnt1_i32_b64 vcc_lo, s[44:45]
	v_mov_b32_e32 v4, vcc_lo
	v_mov_b32_e32 v5, v52
	ds_add_u64 v0, v[4:5]
	s_trap 2
.LBB2_379:                              ;   in Loop: Header=BB2_274 Depth=3
	s_or_b64 exec, exec, s[42:43]
	s_trap 2
	ds_read_b64 v[4:5], v0
	v_add_co_u32_e32 v48, vcc, v48, v54
	v_addc_co_u32_e32 v49, vcc, 0, v49, vcc
	s_waitcnt lgkmcnt(0)
	v_cmp_lt_u64_e32 vcc, v[4:5], v[48:49]
	s_and_saveexec_b64 s[42:43], vcc
	s_cbranch_execz .LBB2_388
; %bb.380:                              ;   in Loop: Header=BB2_274 Depth=3
	s_mov_b32 s70, 0
	s_mov_b64 s[44:45], 0
                                        ; implicit-def: $sgpr60_sgpr61
                                        ; implicit-def: $sgpr62_sgpr63
	s_branch .LBB2_382
.LBB2_381:                              ;   in Loop: Header=BB2_382 Depth=4
	s_or_b64 exec, exec, s[66:67]
	s_and_b64 vcc, exec, vcc
	s_or_b64 s[44:45], vcc, s[44:45]
	s_andn2_b64 vcc, s[60:61], exec
	s_and_b64 s[60:61], s[62:63], exec
	s_or_b64 s[60:61], vcc, s[60:61]
	s_andn2_b64 exec, exec, s[44:45]
	s_cbranch_execz .LBB2_386
.LBB2_382:                              ;   Parent Loop BB2_47 Depth=1
                                        ;     Parent Loop BB2_271 Depth=2
                                        ;       Parent Loop BB2_274 Depth=3
                                        ; =>      This Inner Loop Header: Depth=4
	s_add_i32 s70, s70, 1
	s_cmpk_lg_i32 s70, 0x2710
	s_cselect_b64 s[64:65], -1, 0
	s_and_b64 vcc, exec, s[64:65]
                                        ; implicit-def: $sgpr66_sgpr67
	s_cbranch_vccnz .LBB2_384
; %bb.383:                              ;   in Loop: Header=BB2_382 Depth=4
	s_trap 2
	ds_read_b64 v[4:5], v0
	s_andn2_b64 s[64:65], s[64:65], exec
	s_mov_b32 s70, 0
	s_mov_b64 s[66:67], -1
	s_waitcnt lgkmcnt(0)
	flat_load_dword v4, v[4:5] glc
	s_waitcnt vmcnt(0) lgkmcnt(0)
	buffer_invl2
	buffer_wbinvl1_vol
	v_cmp_eq_u32_e32 vcc, 0, v4
	s_and_b64 vcc, vcc, exec
	s_or_b64 s[64:65], s[64:65], vcc
.LBB2_384:                              ;   in Loop: Header=BB2_382 Depth=4
	s_andn2_b64 s[62:63], s[62:63], exec
	s_and_b64 s[66:67], s[66:67], exec
	s_mov_b64 vcc, -1
	s_or_b64 s[62:63], s[62:63], s[66:67]
	s_and_saveexec_b64 s[66:67], s[64:65]
	s_cbranch_execz .LBB2_381
; %bb.385:                              ;   in Loop: Header=BB2_382 Depth=4
	s_sleep 1
	s_trap 2
	ds_read_b64 v[4:5], v0
	s_andn2_b64 s[62:63], s[62:63], exec
	s_waitcnt lgkmcnt(0)
	v_cmp_ge_u64_e32 vcc, v[4:5], v[48:49]
	s_orn2_b64 vcc, vcc, exec
	s_branch .LBB2_381
.LBB2_386:                              ;   in Loop: Header=BB2_274 Depth=3
	s_or_b64 exec, exec, s[44:45]
	s_and_saveexec_b64 vcc, s[60:61]
	s_xor_b64 vcc, exec, vcc
	s_cbranch_execz .LBB2_388
; %bb.387:                              ;   in Loop: Header=BB2_274 Depth=3
	ds_write_b32 v0, v26
	s_trap 2
.LBB2_388:                              ;   in Loop: Header=BB2_274 Depth=3
	s_or_b64 exec, exec, s[42:43]
	;;#ASMSTART
	s_wakeup
	;;#ASMEND
.LBB2_389:                              ;   in Loop: Header=BB2_274 Depth=3
	s_or_b64 exec, exec, s[40:41]
.LBB2_390:                              ;   in Loop: Header=BB2_274 Depth=3
	s_andn2_saveexec_b64 vcc, s[38:39]
	s_cbranch_execz .LBB2_392
; %bb.391:                              ;   in Loop: Header=BB2_274 Depth=3
	s_waitcnt vmcnt(0) lgkmcnt(0)
	buffer_wbinvl1_vol
	s_barrier
.LBB2_392:                              ;   in Loop: Header=BB2_274 Depth=3
	s_or_b64 exec, exec, vcc
	s_or_b64 exec, exec, s[28:29]
                                        ; implicit-def: $vgpr4
	s_and_saveexec_b64 s[28:29], s[24:25]
	s_xor_b64 s[38:39], exec, s[28:29]
	s_cbranch_execnz .LBB2_357
.LBB2_393:                              ;   in Loop: Header=BB2_274 Depth=3
	s_andn2_saveexec_b64 s[28:29], s[38:39]
	s_cbranch_execz .LBB2_412
.LBB2_394:                              ;   in Loop: Header=BB2_274 Depth=3
	s_and_saveexec_b64 vcc, s[52:53]
	s_xor_b64 s[38:39], exec, vcc
	s_cbranch_execz .LBB2_409
; %bb.395:                              ;   in Loop: Header=BB2_274 Depth=3
	s_and_saveexec_b64 s[40:41], s[16:17]
	s_cbranch_execz .LBB2_408
; %bb.396:                              ;   in Loop: Header=BB2_274 Depth=3
	s_mov_b64 s[44:45], exec
	v_mbcnt_lo_u32_b32 v3, s44, 0
	v_mbcnt_hi_u32_b32 v3, s45, v3
	v_cmp_eq_u32_e32 vcc, 0, v3
	;;#ASMSTART
	s_waitcnt lgkmcnt(0) vmcnt(0)
	;;#ASMEND
	s_and_saveexec_b64 s[42:43], vcc
	s_cbranch_execz .LBB2_398
; %bb.397:                              ;   in Loop: Header=BB2_274 Depth=3
	s_bcnt1_i32_b64 vcc_lo, s[44:45]
	v_mov_b32_e32 v4, vcc_lo
	v_mov_b32_e32 v5, v52
	ds_add_u64 v0, v[4:5]
	s_trap 2
.LBB2_398:                              ;   in Loop: Header=BB2_274 Depth=3
	s_or_b64 exec, exec, s[42:43]
	s_trap 2
	ds_read_b64 v[4:5], v0
	v_add_co_u32_e32 v48, vcc, v48, v54
	v_addc_co_u32_e32 v49, vcc, 0, v49, vcc
	s_waitcnt lgkmcnt(0)
	v_cmp_lt_u64_e32 vcc, v[4:5], v[48:49]
	s_and_saveexec_b64 s[42:43], vcc
	s_cbranch_execz .LBB2_407
; %bb.399:                              ;   in Loop: Header=BB2_274 Depth=3
	s_mov_b32 s70, 0
	s_mov_b64 s[44:45], 0
                                        ; implicit-def: $sgpr60_sgpr61
                                        ; implicit-def: $sgpr62_sgpr63
	s_branch .LBB2_401
.LBB2_400:                              ;   in Loop: Header=BB2_401 Depth=4
	s_or_b64 exec, exec, s[66:67]
	s_and_b64 vcc, exec, vcc
	s_or_b64 s[44:45], vcc, s[44:45]
	s_andn2_b64 vcc, s[60:61], exec
	s_and_b64 s[60:61], s[62:63], exec
	s_or_b64 s[60:61], vcc, s[60:61]
	s_andn2_b64 exec, exec, s[44:45]
	s_cbranch_execz .LBB2_405
.LBB2_401:                              ;   Parent Loop BB2_47 Depth=1
                                        ;     Parent Loop BB2_271 Depth=2
                                        ;       Parent Loop BB2_274 Depth=3
                                        ; =>      This Inner Loop Header: Depth=4
	s_add_i32 s70, s70, 1
	s_cmpk_lg_i32 s70, 0x2710
	s_cselect_b64 s[64:65], -1, 0
	s_and_b64 vcc, exec, s[64:65]
                                        ; implicit-def: $sgpr66_sgpr67
	s_cbranch_vccnz .LBB2_403
; %bb.402:                              ;   in Loop: Header=BB2_401 Depth=4
	s_trap 2
	ds_read_b64 v[4:5], v0
	s_andn2_b64 s[64:65], s[64:65], exec
	s_mov_b32 s70, 0
	s_mov_b64 s[66:67], -1
	s_waitcnt vmcnt(0) lgkmcnt(0)
	flat_load_dword v3, v[4:5] glc
	s_waitcnt vmcnt(0) lgkmcnt(0)
	buffer_invl2
	buffer_wbinvl1_vol
	v_cmp_eq_u32_e32 vcc, 0, v3
	s_and_b64 vcc, vcc, exec
	s_or_b64 s[64:65], s[64:65], vcc
.LBB2_403:                              ;   in Loop: Header=BB2_401 Depth=4
	s_andn2_b64 s[62:63], s[62:63], exec
	s_and_b64 s[66:67], s[66:67], exec
	s_mov_b64 vcc, -1
	s_or_b64 s[62:63], s[62:63], s[66:67]
	s_and_saveexec_b64 s[66:67], s[64:65]
	s_cbranch_execz .LBB2_400
; %bb.404:                              ;   in Loop: Header=BB2_401 Depth=4
	s_sleep 1
	s_trap 2
	ds_read_b64 v[4:5], v0
	s_andn2_b64 s[62:63], s[62:63], exec
	s_waitcnt lgkmcnt(0)
	v_cmp_ge_u64_e32 vcc, v[4:5], v[48:49]
	s_orn2_b64 vcc, vcc, exec
	s_branch .LBB2_400
.LBB2_405:                              ;   in Loop: Header=BB2_274 Depth=3
	s_or_b64 exec, exec, s[44:45]
	s_and_saveexec_b64 vcc, s[60:61]
	s_xor_b64 vcc, exec, vcc
	s_cbranch_execz .LBB2_407
; %bb.406:                              ;   in Loop: Header=BB2_274 Depth=3
	ds_write_b32 v0, v26
	s_trap 2
.LBB2_407:                              ;   in Loop: Header=BB2_274 Depth=3
	s_or_b64 exec, exec, s[42:43]
	;;#ASMSTART
	s_wakeup
	;;#ASMEND
.LBB2_408:                              ;   in Loop: Header=BB2_274 Depth=3
	s_or_b64 exec, exec, s[40:41]
.LBB2_409:                              ;   in Loop: Header=BB2_274 Depth=3
	s_andn2_saveexec_b64 vcc, s[38:39]
	s_cbranch_execz .LBB2_411
; %bb.410:                              ;   in Loop: Header=BB2_274 Depth=3
	;;#ASMSTART
	s_waitcnt lgkmcnt(0) vmcnt(0)
	;;#ASMEND
	s_barrier
.LBB2_411:                              ;   in Loop: Header=BB2_274 Depth=3
	s_or_b64 exec, exec, vcc
	v_and_b32_e32 v4, 16, v62
.LBB2_412:                              ;   in Loop: Header=BB2_274 Depth=3
	s_or_b64 exec, exec, s[28:29]
	v_cmp_ne_u32_e32 vcc, 0, v4
	s_xor_b64 s[28:29], s[12:13], -1
	s_and_b64 vcc, vcc, s[28:29]
	s_and_saveexec_b64 s[28:29], vcc
	s_cbranch_execz .LBB2_414
; %bb.413:                              ;   in Loop: Header=BB2_274 Depth=3
	flat_store_dword v[46:47], v26
.LBB2_414:                              ;   in Loop: Header=BB2_274 Depth=3
	s_or_b64 exec, exec, s[28:29]
	v_and_b32_e32 v3, 48, v62
	v_cmp_ne_u32_e32 vcc, 0, v3
	s_and_saveexec_b64 s[28:29], vcc
	s_cbranch_execz .LBB2_273
; %bb.415:                              ;   in Loop: Header=BB2_274 Depth=3
	v_add_co_u32_e32 v32, vcc, 2, v32
	v_addc_co_u32_e32 v33, vcc, 0, v33, vcc
	flat_store_dwordx2 v[34:35], v[32:33]
	s_branch .LBB2_273
.LBB2_416:                              ;   in Loop: Header=BB2_271 Depth=2
	s_or_b64 exec, exec, s[30:31]
	v_cmp_gt_i32_e32 vcc, 2, v3
	s_and_saveexec_b64 s[30:31], vcc
	s_cbranch_execz .LBB2_270
	s_branch .LBB2_418
.LBB2_417:                              ;   in Loop: Header=BB2_271 Depth=2
	s_or_b64 exec, exec, s[34:35]
	s_or_b64 exec, exec, s[30:31]
	v_cmp_gt_i32_e32 vcc, 2, v3
	s_and_saveexec_b64 s[30:31], vcc
	s_cbranch_execz .LBB2_270
.LBB2_418:                              ;   in Loop: Header=BB2_271 Depth=2
	v_cmp_eq_u32_e64 s[28:29], 0, v3
	s_mov_b64 s[34:35], 0
	s_branch .LBB2_420
.LBB2_419:                              ;   in Loop: Header=BB2_420 Depth=3
	s_or_b64 exec, exec, s[28:29]
	v_add_u32_e32 v8, v2, v8
	s_mov_b64 s[28:29], 0
	s_andn2_b64 exec, exec, s[34:35]
	s_cbranch_execz .LBB2_269
.LBB2_420:                              ;   Parent Loop BB2_47 Depth=1
                                        ;     Parent Loop BB2_271 Depth=2
                                        ; =>    This Loop Header: Depth=3
                                        ;         Child Loop BB2_426 Depth 4
                                        ;         Child Loop BB2_466 Depth 4
	;; [unrolled: 1-line block ×3, first 2 shown]
	v_and_b32_e32 v3, 12, v62
	s_mov_b64 s[38:39], -1
	v_cmp_ne_u32_e32 vcc, 0, v3
	s_and_saveexec_b64 s[36:37], vcc
	s_cbranch_execz .LBB2_432
; %bb.421:                              ;   in Loop: Header=BB2_420 Depth=3
	v_and_b32_e32 v4, 8, v62
	v_add_co_u32_e32 v12, vcc, v50, v4
	v_addc_co_u32_e32 v13, vcc, 0, v51, vcc
	v_add_co_u32_e32 v10, vcc, 2, v32
	v_addc_co_u32_e32 v11, vcc, 0, v33, vcc
	v_cmp_lt_u64_e32 vcc, v[12:13], v[10:11]
	v_mov_b32_e32 v3, 1
	s_and_saveexec_b64 s[38:39], vcc
	s_cbranch_execz .LBB2_431
; %bb.422:                              ;   in Loop: Header=BB2_420 Depth=3
	s_mov_b64 s[40:41], 0
	v_mov_b32_e32 v3, 0
                                        ; implicit-def: $sgpr42_sgpr43
	s_branch .LBB2_426
.LBB2_423:                              ;   in Loop: Header=BB2_426 Depth=4
	s_or_b64 exec, exec, s[64:65]
	v_mov_b32_e32 v5, 0
	s_orn2_b64 s[62:63], s[62:63], exec
.LBB2_424:                              ;   in Loop: Header=BB2_426 Depth=4
	s_or_b64 exec, exec, s[60:61]
	s_andn2_b64 vcc, s[42:43], exec
	s_and_b64 s[42:43], s[62:63], exec
	s_or_b64 s[42:43], vcc, s[42:43]
	v_mov_b32_e32 v3, v5
.LBB2_425:                              ;   in Loop: Header=BB2_426 Depth=4
	s_or_b64 exec, exec, s[44:45]
	s_waitcnt vmcnt(0) lgkmcnt(0)
	v_add_co_u32_e32 v12, vcc, v50, v4
	v_addc_co_u32_e32 v13, vcc, 0, v51, vcc
	v_cmp_ge_u64_e32 vcc, v[12:13], v[10:11]
	s_xor_b64 s[44:45], s[42:43], -1
	s_or_b64 vcc, s[44:45], vcc
	s_and_b64 vcc, exec, vcc
	s_or_b64 s[40:41], vcc, s[40:41]
	s_andn2_b64 exec, exec, s[40:41]
	s_cbranch_execz .LBB2_430
.LBB2_426:                              ;   Parent Loop BB2_47 Depth=1
                                        ;     Parent Loop BB2_271 Depth=2
                                        ;       Parent Loop BB2_420 Depth=3
                                        ; =>      This Inner Loop Header: Depth=4
	s_sleep 1
	flat_load_dwordx2 v[50:51], v[34:35] glc
	v_and_b32_e32 v5, 64, v62
	v_cmp_eq_u32_e32 vcc, 0, v5
	s_andn2_b64 s[42:43], s[42:43], exec
	s_and_saveexec_b64 s[44:45], vcc
	s_cbranch_execz .LBB2_425
; %bb.427:                              ;   in Loop: Header=BB2_426 Depth=4
	v_add_u32_e32 v5, 1, v3
	v_cmp_lt_i32_e32 vcc, s83, v3
	s_mov_b64 s[62:63], -1
	s_and_saveexec_b64 s[60:61], vcc
	s_cbranch_execz .LBB2_424
; %bb.428:                              ;   in Loop: Header=BB2_426 Depth=4
	s_trap 2
	ds_read_b64 v[12:13], v0
	s_waitcnt vmcnt(0) lgkmcnt(0)
	flat_load_dword v3, v[12:13] glc
	s_waitcnt vmcnt(0) lgkmcnt(0)
	buffer_invl2
	buffer_wbinvl1_vol
	v_cmp_ne_u32_e32 vcc, 0, v3
	s_and_saveexec_b64 s[64:65], vcc
	s_cbranch_execz .LBB2_423
; %bb.429:                              ;   in Loop: Header=BB2_426 Depth=4
	v_or_b32_e32 v62, 64, v62
	s_xor_b64 s[62:63], exec, -1
	ds_write_b32 v0, v3
	s_trap 2
	s_branch .LBB2_423
.LBB2_430:                              ;   in Loop: Header=BB2_420 Depth=3
	s_or_b64 exec, exec, s[40:41]
	v_and_b32_e32 v3, 12, v62
.LBB2_431:                              ;   in Loop: Header=BB2_420 Depth=3
	s_or_b64 exec, exec, s[38:39]
	v_cmp_eq_u32_e32 vcc, 0, v3
	s_orn2_b64 s[38:39], vcc, exec
	;;#ASMSTART
	s_wakeup
	;;#ASMEND
.LBB2_432:                              ;   in Loop: Header=BB2_420 Depth=3
	s_or_b64 exec, exec, s[36:37]
	s_xor_b64 s[28:29], s[28:29], -1
	s_and_b64 s[28:29], exec, s[28:29]
	s_or_b64 s[34:35], s[28:29], s[34:35]
	v_sub_u32_e32 v3, v18, v8
	s_xor_b64 s[28:29], s[38:39], -1
	v_min_i32_e32 v2, v2, v3
	s_and_saveexec_b64 s[36:37], s[28:29]
	s_cbranch_execz .LBB2_458
; %bb.433:                              ;   in Loop: Header=BB2_420 Depth=3
	v_and_b32_e32 v3, 0x108, v62
	v_cmp_ne_u32_e32 vcc, s84, v3
	v_and_b32_e32 v4, 7, v32
	s_and_saveexec_b64 s[28:29], vcc
	s_xor_b64 s[28:29], exec, s[28:29]
                                        ; implicit-def: $vgpr10_vgpr11
; %bb.434:                              ;   in Loop: Header=BB2_420 Depth=3
	v_mov_b32_e32 v11, v52
; %bb.435:                              ;   in Loop: Header=BB2_420 Depth=3
	s_andn2_saveexec_b64 s[28:29], s[28:29]
	s_cbranch_execz .LBB2_437
; %bb.436:                              ;   in Loop: Header=BB2_420 Depth=3
	v_ashrrev_i32_e32 v3, 31, v2
	v_mov_b32_e32 v11, v52
	v_mad_u64_u32 v[12:13], vcc, v4, 24, v[38:39]
	v_lshlrev_b64 v[14:15], 2, v[2:3]
	flat_store_dwordx2 v[12:13], v[14:15] offset:8
.LBB2_437:                              ;   in Loop: Header=BB2_420 Depth=3
	s_or_b64 exec, exec, s[28:29]
	v_and_b32_e32 v3, 0x100, v62
	v_cmp_ne_u32_e32 vcc, 0, v3
	s_mov_b64 s[28:29], -1
                                        ; implicit-def: $vgpr12_vgpr13
	s_and_saveexec_b64 s[38:39], vcc
	s_cbranch_execz .LBB2_441
; %bb.438:                              ;   in Loop: Header=BB2_420 Depth=3
	v_mad_u64_u32 v[14:15], s[28:29], v4, 24, v[38:39]
	v_mov_b32_e32 v10, v15
	v_mad_u64_u32 v[12:13], s[28:29], v11, 24, v[10:11]
	v_mov_b32_e32 v15, v12
	flat_load_dword v3, v[14:15]
                                        ; implicit-def: $vgpr12_vgpr13
	s_waitcnt vmcnt(0) lgkmcnt(0)
	v_cmp_ne_u32_e32 vcc, 1, v3
	v_cmp_eq_u32_e64 s[28:29], 1, v3
	s_and_saveexec_b64 s[40:41], s[28:29]
	s_cbranch_execz .LBB2_440
; %bb.439:                              ;   in Loop: Header=BB2_420 Depth=3
	flat_load_dword v12, v[14:15] offset:4 glc
	s_waitcnt vmcnt(0) lgkmcnt(0)
	v_ashrrev_i32_e32 v13, 31, v12
	v_lshrrev_b64 v[12:13], 2, v[12:13]
.LBB2_440:                              ;   in Loop: Header=BB2_420 Depth=3
	s_or_b64 exec, exec, s[40:41]
	s_orn2_b64 s[28:29], vcc, exec
.LBB2_441:                              ;   in Loop: Header=BB2_420 Depth=3
	s_or_b64 exec, exec, s[38:39]
	s_and_saveexec_b64 vcc, s[28:29]
; %bb.442:                              ;   in Loop: Header=BB2_420 Depth=3
	v_mul_lo_u32 v3, v11, v30
	v_mul_lo_u32 v5, v4, v45
	v_mad_u64_u32 v[12:13], s[28:29], v4, v30, 0
	v_add3_u32 v13, v13, v5, v3
; %bb.443:                              ;   in Loop: Header=BB2_420 Depth=3
	s_or_b64 exec, exec, vcc
	v_lshlrev_b64 v[4:5], 2, v[12:13]
	v_add_co_u32_e32 v4, vcc, v36, v4
	v_addc_co_u32_e32 v5, vcc, v37, v5, vcc
	v_and_b32_e32 v3, 0x2000, v62
	v_cmp_ne_u32_e32 vcc, 0, v3
	s_trap 2
	ds_write_b64 v0, v[4:5]
	s_and_saveexec_b64 s[28:29], vcc
	s_cbranch_execz .LBB2_445
; %bb.444:                              ;   in Loop: Header=BB2_420 Depth=3
	ds_read_b64 v[4:5], v0 offset:584
	s_waitcnt lgkmcnt(0)
	v_add_co_u32_e32 v4, vcc, 1, v4
	v_addc_co_u32_e32 v5, vcc, 0, v5, vcc
	ds_write_b64 v0, v[4:5] offset:584
.LBB2_445:                              ;   in Loop: Header=BB2_420 Depth=3
	s_or_b64 exec, exec, s[28:29]
	v_add_co_u32_e32 v32, vcc, 2, v32
	v_addc_co_u32_e32 v33, vcc, 0, v33, vcc
	s_or_b64 exec, exec, s[36:37]
	s_and_saveexec_b64 s[28:29], s[10:11]
	s_cbranch_execnz .LBB2_459
.LBB2_446:                              ;   in Loop: Header=BB2_420 Depth=3
	s_or_b64 exec, exec, s[28:29]
                                        ; implicit-def: $vgpr3
	s_and_saveexec_b64 s[28:29], s[56:57]
	s_xor_b64 s[28:29], exec, s[28:29]
	s_cbranch_execz .LBB2_484
.LBB2_447:                              ;   in Loop: Header=BB2_420 Depth=3
	s_and_saveexec_b64 vcc, s[52:53]
	s_xor_b64 s[36:37], exec, vcc
	s_cbranch_execz .LBB2_474
; %bb.448:                              ;   in Loop: Header=BB2_420 Depth=3
	s_and_saveexec_b64 s[38:39], s[16:17]
	s_cbranch_execz .LBB2_473
; %bb.449:                              ;   in Loop: Header=BB2_420 Depth=3
	s_mov_b64 s[42:43], exec
	v_mbcnt_lo_u32_b32 v3, s42, 0
	v_mbcnt_hi_u32_b32 v3, s43, v3
	v_cmp_eq_u32_e32 vcc, 0, v3
	;;#ASMSTART
	s_waitcnt lgkmcnt(0) vmcnt(0)
	;;#ASMEND
	s_and_saveexec_b64 s[40:41], vcc
	s_cbranch_execz .LBB2_451
; %bb.450:                              ;   in Loop: Header=BB2_420 Depth=3
	s_bcnt1_i32_b64 vcc_lo, s[42:43]
	v_mov_b32_e32 v4, vcc_lo
	v_mov_b32_e32 v5, v52
	ds_add_u64 v0, v[4:5]
	s_trap 2
.LBB2_451:                              ;   in Loop: Header=BB2_420 Depth=3
	s_or_b64 exec, exec, s[40:41]
	s_trap 2
	ds_read_b64 v[4:5], v0
	v_add_co_u32_e32 v48, vcc, v48, v54
	v_addc_co_u32_e32 v49, vcc, 0, v49, vcc
	s_waitcnt lgkmcnt(0)
	v_cmp_lt_u64_e32 vcc, v[4:5], v[48:49]
	s_and_saveexec_b64 s[40:41], vcc
	s_cbranch_execz .LBB2_472
; %bb.452:                              ;   in Loop: Header=BB2_420 Depth=3
	s_mov_b32 s66, 0
	s_mov_b64 s[42:43], 0
                                        ; implicit-def: $sgpr44_sgpr45
                                        ; implicit-def: $sgpr60_sgpr61
	s_branch .LBB2_454
.LBB2_453:                              ;   in Loop: Header=BB2_454 Depth=4
	s_or_b64 exec, exec, s[64:65]
	s_and_b64 vcc, exec, vcc
	s_or_b64 s[42:43], vcc, s[42:43]
	s_andn2_b64 vcc, s[44:45], exec
	s_and_b64 s[44:45], s[60:61], exec
	s_or_b64 s[44:45], vcc, s[44:45]
	s_andn2_b64 exec, exec, s[42:43]
	s_cbranch_execz .LBB2_470
.LBB2_454:                              ;   Parent Loop BB2_47 Depth=1
                                        ;     Parent Loop BB2_271 Depth=2
                                        ;       Parent Loop BB2_420 Depth=3
                                        ; =>      This Inner Loop Header: Depth=4
	s_add_i32 s66, s66, 1
	s_cmpk_lg_i32 s66, 0x2710
	s_cselect_b64 s[62:63], -1, 0
	s_and_b64 vcc, exec, s[62:63]
                                        ; implicit-def: $sgpr64_sgpr65
	s_cbranch_vccnz .LBB2_456
; %bb.455:                              ;   in Loop: Header=BB2_454 Depth=4
	s_trap 2
	ds_read_b64 v[4:5], v0
	s_andn2_b64 s[62:63], s[62:63], exec
	s_mov_b32 s66, 0
	s_mov_b64 s[64:65], -1
	s_waitcnt vmcnt(0) lgkmcnt(0)
	flat_load_dword v3, v[4:5] glc
	s_waitcnt vmcnt(0) lgkmcnt(0)
	buffer_invl2
	buffer_wbinvl1_vol
	v_cmp_eq_u32_e32 vcc, 0, v3
	s_and_b64 vcc, vcc, exec
	s_or_b64 s[62:63], s[62:63], vcc
.LBB2_456:                              ;   in Loop: Header=BB2_454 Depth=4
	s_andn2_b64 s[60:61], s[60:61], exec
	s_and_b64 s[64:65], s[64:65], exec
	s_mov_b64 vcc, -1
	s_or_b64 s[60:61], s[60:61], s[64:65]
	s_and_saveexec_b64 s[64:65], s[62:63]
	s_cbranch_execz .LBB2_453
; %bb.457:                              ;   in Loop: Header=BB2_454 Depth=4
	s_sleep 1
	s_trap 2
	ds_read_b64 v[4:5], v0
	s_andn2_b64 s[60:61], s[60:61], exec
	s_waitcnt lgkmcnt(0)
	v_cmp_ge_u64_e32 vcc, v[4:5], v[48:49]
	s_orn2_b64 vcc, vcc, exec
	s_branch .LBB2_453
.LBB2_458:                              ;   in Loop: Header=BB2_420 Depth=3
	s_or_b64 exec, exec, s[36:37]
	s_and_saveexec_b64 s[28:29], s[10:11]
	s_cbranch_execz .LBB2_446
.LBB2_459:                              ;   in Loop: Header=BB2_420 Depth=3
	s_and_saveexec_b64 vcc, s[52:53]
	s_xor_b64 s[36:37], exec, vcc
	s_cbranch_execz .LBB2_481
; %bb.460:                              ;   in Loop: Header=BB2_420 Depth=3
	s_and_saveexec_b64 s[38:39], s[16:17]
	s_cbranch_execz .LBB2_480
; %bb.461:                              ;   in Loop: Header=BB2_420 Depth=3
	s_mov_b64 s[42:43], exec
	v_mbcnt_lo_u32_b32 v3, s42, 0
	v_mbcnt_hi_u32_b32 v3, s43, v3
	v_cmp_eq_u32_e32 vcc, 0, v3
	s_waitcnt vmcnt(0) lgkmcnt(0)
	buffer_wbinvl1_vol
	s_and_saveexec_b64 s[40:41], vcc
	s_cbranch_execz .LBB2_463
; %bb.462:                              ;   in Loop: Header=BB2_420 Depth=3
	s_bcnt1_i32_b64 vcc_lo, s[42:43]
	v_mov_b32_e32 v4, vcc_lo
	v_mov_b32_e32 v5, v52
	ds_add_u64 v0, v[4:5]
	s_trap 2
.LBB2_463:                              ;   in Loop: Header=BB2_420 Depth=3
	s_or_b64 exec, exec, s[40:41]
	s_trap 2
	ds_read_b64 v[4:5], v0
	v_add_co_u32_e32 v48, vcc, v48, v54
	v_addc_co_u32_e32 v49, vcc, 0, v49, vcc
	s_waitcnt lgkmcnt(0)
	v_cmp_lt_u64_e32 vcc, v[4:5], v[48:49]
	s_and_saveexec_b64 s[40:41], vcc
	s_cbranch_execz .LBB2_479
; %bb.464:                              ;   in Loop: Header=BB2_420 Depth=3
	s_mov_b32 s66, 0
	s_mov_b64 s[42:43], 0
                                        ; implicit-def: $sgpr44_sgpr45
                                        ; implicit-def: $sgpr60_sgpr61
	s_branch .LBB2_466
.LBB2_465:                              ;   in Loop: Header=BB2_466 Depth=4
	s_or_b64 exec, exec, s[64:65]
	s_and_b64 vcc, exec, vcc
	s_or_b64 s[42:43], vcc, s[42:43]
	s_andn2_b64 vcc, s[44:45], exec
	s_and_b64 s[44:45], s[60:61], exec
	s_or_b64 s[44:45], vcc, s[44:45]
	s_andn2_b64 exec, exec, s[42:43]
	s_cbranch_execz .LBB2_477
.LBB2_466:                              ;   Parent Loop BB2_47 Depth=1
                                        ;     Parent Loop BB2_271 Depth=2
                                        ;       Parent Loop BB2_420 Depth=3
                                        ; =>      This Inner Loop Header: Depth=4
	s_add_i32 s66, s66, 1
	s_cmpk_lg_i32 s66, 0x2710
	s_cselect_b64 s[62:63], -1, 0
	s_and_b64 vcc, exec, s[62:63]
                                        ; implicit-def: $sgpr64_sgpr65
	s_cbranch_vccnz .LBB2_468
; %bb.467:                              ;   in Loop: Header=BB2_466 Depth=4
	s_trap 2
	ds_read_b64 v[4:5], v0
	s_andn2_b64 s[62:63], s[62:63], exec
	s_mov_b32 s66, 0
	s_mov_b64 s[64:65], -1
	s_waitcnt lgkmcnt(0)
	flat_load_dword v3, v[4:5] glc
	s_waitcnt vmcnt(0) lgkmcnt(0)
	buffer_invl2
	buffer_wbinvl1_vol
	v_cmp_eq_u32_e32 vcc, 0, v3
	s_and_b64 vcc, vcc, exec
	s_or_b64 s[62:63], s[62:63], vcc
.LBB2_468:                              ;   in Loop: Header=BB2_466 Depth=4
	s_andn2_b64 s[60:61], s[60:61], exec
	s_and_b64 s[64:65], s[64:65], exec
	s_mov_b64 vcc, -1
	s_or_b64 s[60:61], s[60:61], s[64:65]
	s_and_saveexec_b64 s[64:65], s[62:63]
	s_cbranch_execz .LBB2_465
; %bb.469:                              ;   in Loop: Header=BB2_466 Depth=4
	s_sleep 1
	s_trap 2
	ds_read_b64 v[4:5], v0
	s_andn2_b64 s[60:61], s[60:61], exec
	s_waitcnt lgkmcnt(0)
	v_cmp_ge_u64_e32 vcc, v[4:5], v[48:49]
	s_orn2_b64 vcc, vcc, exec
	s_branch .LBB2_465
.LBB2_470:                              ;   in Loop: Header=BB2_420 Depth=3
	s_or_b64 exec, exec, s[42:43]
	s_and_saveexec_b64 vcc, s[44:45]
	s_xor_b64 vcc, exec, vcc
	s_cbranch_execz .LBB2_472
; %bb.471:                              ;   in Loop: Header=BB2_420 Depth=3
	ds_write_b32 v0, v26
	s_trap 2
.LBB2_472:                              ;   in Loop: Header=BB2_420 Depth=3
	s_or_b64 exec, exec, s[40:41]
	;;#ASMSTART
	s_wakeup
	;;#ASMEND
.LBB2_473:                              ;   in Loop: Header=BB2_420 Depth=3
	s_or_b64 exec, exec, s[38:39]
.LBB2_474:                              ;   in Loop: Header=BB2_420 Depth=3
	s_andn2_saveexec_b64 vcc, s[36:37]
	s_cbranch_execz .LBB2_476
; %bb.475:                              ;   in Loop: Header=BB2_420 Depth=3
	;;#ASMSTART
	s_waitcnt lgkmcnt(0) vmcnt(0)
	;;#ASMEND
	s_barrier
.LBB2_476:                              ;   in Loop: Header=BB2_420 Depth=3
	s_or_b64 exec, exec, vcc
	v_and_b32_e32 v3, 16, v62
	s_andn2_saveexec_b64 s[28:29], s[28:29]
	s_cbranch_execz .LBB2_488
	s_branch .LBB2_485
.LBB2_477:                              ;   in Loop: Header=BB2_420 Depth=3
	s_or_b64 exec, exec, s[42:43]
	s_and_saveexec_b64 vcc, s[44:45]
	s_xor_b64 vcc, exec, vcc
	s_cbranch_execz .LBB2_479
; %bb.478:                              ;   in Loop: Header=BB2_420 Depth=3
	ds_write_b32 v0, v26
	s_trap 2
.LBB2_479:                              ;   in Loop: Header=BB2_420 Depth=3
	s_or_b64 exec, exec, s[40:41]
	;;#ASMSTART
	s_wakeup
	;;#ASMEND
.LBB2_480:                              ;   in Loop: Header=BB2_420 Depth=3
	s_or_b64 exec, exec, s[38:39]
.LBB2_481:                              ;   in Loop: Header=BB2_420 Depth=3
	s_andn2_saveexec_b64 vcc, s[36:37]
	s_cbranch_execz .LBB2_483
; %bb.482:                              ;   in Loop: Header=BB2_420 Depth=3
	s_waitcnt vmcnt(0) lgkmcnt(0)
	buffer_wbinvl1_vol
	s_barrier
.LBB2_483:                              ;   in Loop: Header=BB2_420 Depth=3
	s_or_b64 exec, exec, vcc
	s_or_b64 exec, exec, s[28:29]
                                        ; implicit-def: $vgpr3
	s_and_saveexec_b64 s[28:29], s[56:57]
	s_xor_b64 s[28:29], exec, s[28:29]
	s_cbranch_execnz .LBB2_447
.LBB2_484:                              ;   in Loop: Header=BB2_420 Depth=3
	s_andn2_saveexec_b64 s[28:29], s[28:29]
	s_cbranch_execz .LBB2_488
.LBB2_485:                              ;   in Loop: Header=BB2_420 Depth=3
	s_trap 2
	ds_read_b32 v4, v0
	v_cmp_lt_i32_e32 vcc, 0, v2
	v_and_b32_e32 v5, 16, v62
	v_and_b32_e32 v3, 16, v62
	s_waitcnt lgkmcnt(0)
	v_readfirstlane_b32 s36, v4
	s_cmp_eq_u32 s36, 0
	s_cselect_b64 s[36:37], -1, 0
	s_and_b64 s[36:37], vcc, s[36:37]
	v_cmp_ne_u32_e32 vcc, 0, v5
	s_and_b64 s[36:37], vcc, s[36:37]
	s_and_saveexec_b64 vcc, s[36:37]
	s_cbranch_execz .LBB2_487
; %bb.486:                              ;   in Loop: Header=BB2_420 Depth=3
	v_mov_b32_e32 v3, 1
	s_waitcnt vmcnt(0)
	buffer_wbinvl1_vol
.LBB2_487:                              ;   in Loop: Header=BB2_420 Depth=3
	s_or_b64 exec, exec, vcc
.LBB2_488:                              ;   in Loop: Header=BB2_420 Depth=3
	s_or_b64 exec, exec, s[28:29]
	v_cmp_ne_u32_e32 vcc, 0, v3
	s_xor_b64 s[28:29], s[12:13], -1
	s_and_b64 vcc, vcc, s[28:29]
	s_and_saveexec_b64 s[28:29], vcc
	s_cbranch_execz .LBB2_490
; %bb.489:                              ;   in Loop: Header=BB2_420 Depth=3
	flat_store_dword v[46:47], v26
.LBB2_490:                              ;   in Loop: Header=BB2_420 Depth=3
	s_or_b64 exec, exec, s[28:29]
	v_and_b32_e32 v3, 48, v62
	v_cmp_ne_u32_e32 vcc, 0, v3
	s_and_saveexec_b64 s[28:29], vcc
	s_cbranch_execz .LBB2_419
; %bb.491:                              ;   in Loop: Header=BB2_420 Depth=3
	v_add_co_u32_e32 v32, vcc, 2, v32
	v_addc_co_u32_e32 v33, vcc, 0, v33, vcc
	flat_store_dwordx2 v[34:35], v[32:33]
	s_branch .LBB2_419
.LBB2_492:                              ;   in Loop: Header=BB2_47 Depth=1
	v_accvgpr_read_b32 v18, a20
	v_accvgpr_read_b32 v19, a21
.LBB2_493:                              ;   in Loop: Header=BB2_47 Depth=1
	v_accvgpr_read_b32 v8, a30
	v_accvgpr_read_b32 v9, a31
	v_mul_lo_u32 v2, v9, s72
	v_mul_lo_u32 v3, v8, s73
	v_mad_u64_u32 v[4:5], s[28:29], v8, s72, 0
	v_add3_u32 v5, v5, v3, v2
	v_accvgpr_read_b32 v2, a32
	v_accvgpr_read_b32 v3, a33
	v_sub_co_u32_e32 v2, vcc, v2, v4
	v_subb_co_u32_e32 v3, vcc, v3, v5, vcc
	v_cmp_lt_i64_e32 vcc, v[8:9], v[2:3]
	v_cndmask_b32_e32 v3, v2, v8, vcc
	v_max_i32_e32 v53, 0, v3
	v_add_u32_e32 v2, 31, v53
	v_lshrrev_b32_e32 v2, 1, v2
	v_and_b32_e32 v2, 0x3ffffff0, v2
	v_cmp_lt_i32_e32 vcc, 0, v3
	v_max_i32_e32 v2, s79, v2
	s_and_b64 s[28:29], s[58:59], vcc
	v_mov_b32_e32 v3, 0
	v_mov_b32_e32 v24, 0
	s_and_saveexec_b64 s[60:61], s[28:29]
	s_cbranch_execz .LBB2_679
; %bb.494:                              ;   in Loop: Header=BB2_47 Depth=1
	v_accvgpr_read_b32 v8, a34
	v_accvgpr_read_b32 v9, a35
	v_add_co_u32_e32 v4, vcc, v4, v8
	v_addc_co_u32_e32 v5, vcc, v5, v9, vcc
	v_lshlrev_b64 v[4:5], 2, v[4:5]
	v_accvgpr_write_b32 a39, v5
	s_mov_b32 s85, 1
	s_mov_b64 s[64:65], -1
	s_mov_b64 s[62:63], 0
	v_mov_b32_e32 v24, 0
	v_accvgpr_write_b32 a38, v4
	v_accvgpr_write_b32 a36, v53
	s_branch .LBB2_496
.LBB2_495:                              ;   in Loop: Header=BB2_496 Depth=2
	s_or_b64 exec, exec, s[28:29]
	v_add_u32_e32 v24, v2, v24
	v_cmp_ge_i32_e32 vcc, v24, v53
	s_xor_b64 s[28:29], s[64:65], -1
	s_or_b64 s[28:29], s[28:29], vcc
	s_and_b64 s[28:29], exec, s[28:29]
	s_or_b64 s[62:63], s[28:29], s[62:63]
	s_mov_b64 s[64:65], 0
	v_mov_b32_e32 v3, s85
	s_mov_b32 s85, 2
	s_andn2_b64 exec, exec, s[62:63]
	s_cbranch_execz .LBB2_754
.LBB2_496:                              ;   Parent Loop BB2_47 Depth=1
                                        ; =>  This Loop Header: Depth=2
                                        ;       Child Loop BB2_504 Depth 3
                                        ;       Child Loop BB2_532 Depth 3
	;; [unrolled: 1-line block ×9, first 2 shown]
                                        ;         Child Loop BB2_578 Depth 4
                                        ;       Child Loop BB2_590 Depth 3
                                        ;         Child Loop BB2_591 Depth 4
                                        ;       Child Loop BB2_597 Depth 3
	;; [unrolled: 2-line block ×3, first 2 shown]
                                        ;       Child Loop BB2_664 Depth 3
	s_and_saveexec_b64 s[28:29], s[4:5]
	s_cbranch_execz .LBB2_498
; %bb.497:                              ;   in Loop: Header=BB2_496 Depth=2
	s_trap 2
	ds_read2_b64 v[8:11], v0 offset1:1
	ds_read_b64 v[4:5], v0
	v_accvgpr_read_b32 v14, a38
	v_accvgpr_read_b32 v15, a39
	v_ashrrev_i32_e32 v25, 31, v24
	s_waitcnt lgkmcnt(0)
	v_add_co_u32_e32 v3, vcc, v8, v14
	v_addc_co_u32_e32 v13, vcc, v9, v15, vcc
	v_lshlrev_b64 v[8:9], 2, v[24:25]
	v_add_co_u32_e32 v12, vcc, v3, v8
	v_addc_co_u32_e32 v13, vcc, v13, v9, vcc
	v_add_co_u32_e32 v3, vcc, v10, v14
	v_addc_co_u32_e32 v11, vcc, v11, v15, vcc
	;; [unrolled: 2-line block ×3, first 2 shown]
	v_add_co_u32_e32 v3, vcc, v4, v14
	ds_write_b64 v0, v[10:11]
	v_addc_co_u32_e32 v10, vcc, v5, v15, vcc
	v_add_co_u32_e32 v3, vcc, v3, v8
	v_addc_co_u32_e32 v8, vcc, v10, v9, vcc
	v_cmp_ne_u64_e32 vcc, 0, v[4:5]
	v_cndmask_b32_e32 v5, 0, v8, vcc
	v_cndmask_b32_e32 v4, 0, v3, vcc
	ds_write_b64 v0, v[12:13]
	ds_write_b64 v0, v[4:5]
.LBB2_498:                              ;   in Loop: Header=BB2_496 Depth=2
	s_or_b64 exec, exec, s[28:29]
	v_and_b32_e32 v3, 12, v62
	v_cmp_ne_u32_e32 vcc, 0, v3
	s_mov_b64 s[30:31], -1
	s_and_saveexec_b64 s[28:29], vcc
	s_cbranch_execz .LBB2_510
; %bb.499:                              ;   in Loop: Header=BB2_496 Depth=2
	v_and_b32_e32 v4, 8, v62
	v_add_co_u32_e32 v10, vcc, v50, v4
	v_addc_co_u32_e32 v11, vcc, 0, v51, vcc
	v_add_co_u32_e32 v8, vcc, 2, v32
	v_addc_co_u32_e32 v9, vcc, 0, v33, vcc
	v_cmp_lt_u64_e32 vcc, v[10:11], v[8:9]
	v_mov_b32_e32 v3, 1
	s_and_saveexec_b64 s[30:31], vcc
	s_cbranch_execz .LBB2_509
; %bb.500:                              ;   in Loop: Header=BB2_496 Depth=2
	s_mov_b64 s[34:35], 0
	v_mov_b32_e32 v3, 0
                                        ; implicit-def: $sgpr36_sgpr37
	s_branch .LBB2_504
.LBB2_501:                              ;   in Loop: Header=BB2_504 Depth=3
	s_or_b64 exec, exec, s[44:45]
	v_mov_b32_e32 v5, 0
	s_orn2_b64 s[42:43], s[42:43], exec
.LBB2_502:                              ;   in Loop: Header=BB2_504 Depth=3
	s_or_b64 exec, exec, s[40:41]
	s_andn2_b64 vcc, s[36:37], exec
	s_and_b64 s[36:37], s[42:43], exec
	s_or_b64 s[36:37], vcc, s[36:37]
	v_mov_b32_e32 v3, v5
.LBB2_503:                              ;   in Loop: Header=BB2_504 Depth=3
	s_or_b64 exec, exec, s[38:39]
	s_waitcnt vmcnt(0) lgkmcnt(0)
	v_add_co_u32_e32 v10, vcc, v50, v4
	v_addc_co_u32_e32 v11, vcc, 0, v51, vcc
	v_cmp_ge_u64_e32 vcc, v[10:11], v[8:9]
	s_xor_b64 s[38:39], s[36:37], -1
	s_or_b64 vcc, s[38:39], vcc
	s_and_b64 vcc, exec, vcc
	s_or_b64 s[34:35], vcc, s[34:35]
	s_andn2_b64 exec, exec, s[34:35]
	s_cbranch_execz .LBB2_508
.LBB2_504:                              ;   Parent Loop BB2_47 Depth=1
                                        ;     Parent Loop BB2_496 Depth=2
                                        ; =>    This Inner Loop Header: Depth=3
	s_sleep 1
	flat_load_dwordx2 v[50:51], v[34:35] glc
	v_and_b32_e32 v5, 64, v62
	v_cmp_eq_u32_e32 vcc, 0, v5
	s_andn2_b64 s[36:37], s[36:37], exec
	s_and_saveexec_b64 s[38:39], vcc
	s_cbranch_execz .LBB2_503
; %bb.505:                              ;   in Loop: Header=BB2_504 Depth=3
	v_add_u32_e32 v5, 1, v3
	v_cmp_lt_i32_e32 vcc, s83, v3
	s_mov_b64 s[42:43], -1
	s_and_saveexec_b64 s[40:41], vcc
	s_cbranch_execz .LBB2_502
; %bb.506:                              ;   in Loop: Header=BB2_504 Depth=3
	s_trap 2
	ds_read_b64 v[10:11], v0
	s_waitcnt vmcnt(0) lgkmcnt(0)
	flat_load_dword v3, v[10:11] glc
	s_waitcnt vmcnt(0) lgkmcnt(0)
	buffer_invl2
	buffer_wbinvl1_vol
	v_cmp_ne_u32_e32 vcc, 0, v3
	s_and_saveexec_b64 s[44:45], vcc
	s_cbranch_execz .LBB2_501
; %bb.507:                              ;   in Loop: Header=BB2_504 Depth=3
	v_or_b32_e32 v62, 64, v62
	s_xor_b64 s[42:43], exec, -1
	ds_write_b32 v0, v3
	s_trap 2
	s_branch .LBB2_501
.LBB2_508:                              ;   in Loop: Header=BB2_496 Depth=2
	s_or_b64 exec, exec, s[34:35]
	v_and_b32_e32 v3, 12, v62
.LBB2_509:                              ;   in Loop: Header=BB2_496 Depth=2
	s_or_b64 exec, exec, s[30:31]
	v_cmp_eq_u32_e32 vcc, 0, v3
	s_orn2_b64 s[30:31], vcc, exec
	;;#ASMSTART
	s_wakeup
	;;#ASMEND
.LBB2_510:                              ;   in Loop: Header=BB2_496 Depth=2
	s_or_b64 exec, exec, s[28:29]
	v_sub_u32_e32 v3, v53, v24
	s_xor_b64 s[28:29], s[30:31], -1
	v_min_i32_e32 v2, v2, v3
	s_and_saveexec_b64 s[30:31], s[28:29]
	s_cbranch_execz .LBB2_524
; %bb.511:                              ;   in Loop: Header=BB2_496 Depth=2
	v_and_b32_e32 v3, 0x108, v62
	v_cmp_ne_u32_e32 vcc, s84, v3
	v_and_b32_e32 v4, 7, v32
	s_and_saveexec_b64 s[28:29], vcc
	s_xor_b64 s[28:29], exec, s[28:29]
                                        ; implicit-def: $vgpr8_vgpr9
; %bb.512:                              ;   in Loop: Header=BB2_496 Depth=2
	v_mov_b32_e32 v9, v52
; %bb.513:                              ;   in Loop: Header=BB2_496 Depth=2
	s_andn2_saveexec_b64 s[28:29], s[28:29]
	s_cbranch_execz .LBB2_515
; %bb.514:                              ;   in Loop: Header=BB2_496 Depth=2
	v_ashrrev_i32_e32 v3, 31, v2
	v_mov_b32_e32 v9, v52
	v_mad_u64_u32 v[10:11], vcc, v4, 24, v[38:39]
	v_lshlrev_b64 v[12:13], 2, v[2:3]
	flat_store_dwordx2 v[10:11], v[12:13] offset:8
.LBB2_515:                              ;   in Loop: Header=BB2_496 Depth=2
	s_or_b64 exec, exec, s[28:29]
	v_and_b32_e32 v3, 0x100, v62
	v_cmp_ne_u32_e32 vcc, 0, v3
	s_mov_b64 s[28:29], -1
                                        ; implicit-def: $vgpr10_vgpr11
	s_and_saveexec_b64 s[34:35], vcc
	s_cbranch_execz .LBB2_519
; %bb.516:                              ;   in Loop: Header=BB2_496 Depth=2
	v_mad_u64_u32 v[12:13], s[28:29], v4, 24, v[38:39]
	v_mov_b32_e32 v8, v13
	v_mad_u64_u32 v[10:11], s[28:29], v9, 24, v[8:9]
	v_mov_b32_e32 v13, v10
	flat_load_dword v3, v[12:13]
                                        ; implicit-def: $vgpr10_vgpr11
	s_waitcnt vmcnt(0) lgkmcnt(0)
	v_cmp_ne_u32_e32 vcc, 1, v3
	v_cmp_eq_u32_e64 s[28:29], 1, v3
	s_and_saveexec_b64 s[36:37], s[28:29]
	s_cbranch_execz .LBB2_518
; %bb.517:                              ;   in Loop: Header=BB2_496 Depth=2
	flat_load_dword v10, v[12:13] offset:4 glc
	s_waitcnt vmcnt(0) lgkmcnt(0)
	v_ashrrev_i32_e32 v11, 31, v10
	v_lshrrev_b64 v[10:11], 2, v[10:11]
.LBB2_518:                              ;   in Loop: Header=BB2_496 Depth=2
	s_or_b64 exec, exec, s[36:37]
	s_orn2_b64 s[28:29], vcc, exec
.LBB2_519:                              ;   in Loop: Header=BB2_496 Depth=2
	s_or_b64 exec, exec, s[34:35]
	s_and_saveexec_b64 vcc, s[28:29]
; %bb.520:                              ;   in Loop: Header=BB2_496 Depth=2
	v_mul_lo_u32 v3, v9, v30
	v_mul_lo_u32 v5, v4, v45
	v_mad_u64_u32 v[10:11], s[28:29], v4, v30, 0
	v_add3_u32 v11, v11, v5, v3
; %bb.521:                              ;   in Loop: Header=BB2_496 Depth=2
	s_or_b64 exec, exec, vcc
	v_lshlrev_b64 v[4:5], 2, v[10:11]
	v_add_co_u32_e32 v4, vcc, v36, v4
	v_addc_co_u32_e32 v5, vcc, v37, v5, vcc
	v_and_b32_e32 v3, 0x2000, v62
	v_cmp_ne_u32_e32 vcc, 0, v3
	s_trap 2
	ds_write_b64 v0, v[4:5]
	s_and_saveexec_b64 s[28:29], vcc
	s_cbranch_execz .LBB2_523
; %bb.522:                              ;   in Loop: Header=BB2_496 Depth=2
	ds_read_b64 v[4:5], v0 offset:584
	s_waitcnt lgkmcnt(0)
	v_add_co_u32_e32 v4, vcc, 1, v4
	v_addc_co_u32_e32 v5, vcc, 0, v5, vcc
	ds_write_b64 v0, v[4:5] offset:584
.LBB2_523:                              ;   in Loop: Header=BB2_496 Depth=2
	s_or_b64 exec, exec, s[28:29]
	v_add_co_u32_e32 v32, vcc, 2, v32
	v_addc_co_u32_e32 v33, vcc, 0, v33, vcc
.LBB2_524:                              ;   in Loop: Header=BB2_496 Depth=2
	s_or_b64 exec, exec, s[30:31]
	s_and_saveexec_b64 s[28:29], s[10:11]
	s_cbranch_execz .LBB2_543
; %bb.525:                              ;   in Loop: Header=BB2_496 Depth=2
	s_and_saveexec_b64 vcc, s[52:53]
	s_xor_b64 s[30:31], exec, vcc
	s_cbranch_execz .LBB2_540
; %bb.526:                              ;   in Loop: Header=BB2_496 Depth=2
	s_and_saveexec_b64 s[34:35], s[16:17]
	s_cbranch_execz .LBB2_539
; %bb.527:                              ;   in Loop: Header=BB2_496 Depth=2
	s_mov_b64 s[38:39], exec
	v_mbcnt_lo_u32_b32 v3, s38, 0
	v_mbcnt_hi_u32_b32 v3, s39, v3
	v_cmp_eq_u32_e32 vcc, 0, v3
	s_waitcnt vmcnt(0) lgkmcnt(0)
	buffer_wbinvl1_vol
	s_and_saveexec_b64 s[36:37], vcc
	s_cbranch_execz .LBB2_529
; %bb.528:                              ;   in Loop: Header=BB2_496 Depth=2
	s_bcnt1_i32_b64 vcc_lo, s[38:39]
	v_mov_b32_e32 v4, vcc_lo
	v_mov_b32_e32 v5, v52
	ds_add_u64 v0, v[4:5]
	s_trap 2
.LBB2_529:                              ;   in Loop: Header=BB2_496 Depth=2
	s_or_b64 exec, exec, s[36:37]
	s_trap 2
	ds_read_b64 v[4:5], v0
	v_add_co_u32_e32 v48, vcc, v48, v54
	v_addc_co_u32_e32 v49, vcc, 0, v49, vcc
	s_waitcnt lgkmcnt(0)
	v_cmp_lt_u64_e32 vcc, v[4:5], v[48:49]
	s_and_saveexec_b64 s[36:37], vcc
	s_cbranch_execz .LBB2_538
; %bb.530:                              ;   in Loop: Header=BB2_496 Depth=2
	s_mov_b32 s68, 0
	s_mov_b64 s[38:39], 0
                                        ; implicit-def: $sgpr40_sgpr41
                                        ; implicit-def: $sgpr42_sgpr43
	s_branch .LBB2_532
.LBB2_531:                              ;   in Loop: Header=BB2_532 Depth=3
	s_or_b64 exec, exec, s[66:67]
	s_and_b64 vcc, exec, vcc
	s_or_b64 s[38:39], vcc, s[38:39]
	s_andn2_b64 vcc, s[40:41], exec
	s_and_b64 s[40:41], s[42:43], exec
	s_or_b64 s[40:41], vcc, s[40:41]
	s_andn2_b64 exec, exec, s[38:39]
	s_cbranch_execz .LBB2_536
.LBB2_532:                              ;   Parent Loop BB2_47 Depth=1
                                        ;     Parent Loop BB2_496 Depth=2
                                        ; =>    This Inner Loop Header: Depth=3
	s_add_i32 s68, s68, 1
	s_cmpk_lg_i32 s68, 0x2710
	s_cselect_b64 s[44:45], -1, 0
	s_and_b64 vcc, exec, s[44:45]
                                        ; implicit-def: $sgpr66_sgpr67
	s_cbranch_vccnz .LBB2_534
; %bb.533:                              ;   in Loop: Header=BB2_532 Depth=3
	s_trap 2
	ds_read_b64 v[4:5], v0
	s_andn2_b64 s[44:45], s[44:45], exec
	s_mov_b32 s68, 0
	s_mov_b64 s[66:67], -1
	s_waitcnt lgkmcnt(0)
	flat_load_dword v3, v[4:5] glc
	s_waitcnt vmcnt(0) lgkmcnt(0)
	buffer_invl2
	buffer_wbinvl1_vol
	v_cmp_eq_u32_e32 vcc, 0, v3
	s_and_b64 vcc, vcc, exec
	s_or_b64 s[44:45], s[44:45], vcc
.LBB2_534:                              ;   in Loop: Header=BB2_532 Depth=3
	s_andn2_b64 s[42:43], s[42:43], exec
	s_and_b64 s[66:67], s[66:67], exec
	s_mov_b64 vcc, -1
	s_or_b64 s[42:43], s[42:43], s[66:67]
	s_and_saveexec_b64 s[66:67], s[44:45]
	s_cbranch_execz .LBB2_531
; %bb.535:                              ;   in Loop: Header=BB2_532 Depth=3
	s_sleep 1
	s_trap 2
	ds_read_b64 v[4:5], v0
	s_andn2_b64 s[42:43], s[42:43], exec
	s_waitcnt lgkmcnt(0)
	v_cmp_ge_u64_e32 vcc, v[4:5], v[48:49]
	s_orn2_b64 vcc, vcc, exec
	s_branch .LBB2_531
.LBB2_536:                              ;   in Loop: Header=BB2_496 Depth=2
	s_or_b64 exec, exec, s[38:39]
	s_and_saveexec_b64 vcc, s[40:41]
	s_xor_b64 vcc, exec, vcc
	s_cbranch_execz .LBB2_538
; %bb.537:                              ;   in Loop: Header=BB2_496 Depth=2
	ds_write_b32 v0, v26
	s_trap 2
.LBB2_538:                              ;   in Loop: Header=BB2_496 Depth=2
	s_or_b64 exec, exec, s[36:37]
	;;#ASMSTART
	s_wakeup
	;;#ASMEND
.LBB2_539:                              ;   in Loop: Header=BB2_496 Depth=2
	s_or_b64 exec, exec, s[34:35]
.LBB2_540:                              ;   in Loop: Header=BB2_496 Depth=2
	s_andn2_saveexec_b64 vcc, s[30:31]
	s_cbranch_execz .LBB2_542
; %bb.541:                              ;   in Loop: Header=BB2_496 Depth=2
	s_waitcnt vmcnt(0) lgkmcnt(0)
	buffer_wbinvl1_vol
	s_barrier
.LBB2_542:                              ;   in Loop: Header=BB2_496 Depth=2
	s_or_b64 exec, exec, vcc
.LBB2_543:                              ;   in Loop: Header=BB2_496 Depth=2
	s_or_b64 exec, exec, s[28:29]
	s_trap 2
	ds_read_b32 v8, v0
	v_and_b32_e32 v3, 0x4000, v62
	v_cmp_ne_u32_e32 vcc, 0, v3
	s_xor_b64 s[28:29], s[6:7], -1
	s_and_b64 vcc, s[28:29], vcc
	s_and_saveexec_b64 s[28:29], vcc
	s_cbranch_execz .LBB2_562
; %bb.544:                              ;   in Loop: Header=BB2_496 Depth=2
	s_and_saveexec_b64 vcc, s[52:53]
	s_xor_b64 s[30:31], exec, vcc
	s_cbranch_execz .LBB2_559
; %bb.545:                              ;   in Loop: Header=BB2_496 Depth=2
	s_and_saveexec_b64 s[34:35], s[16:17]
	s_cbranch_execz .LBB2_558
; %bb.546:                              ;   in Loop: Header=BB2_496 Depth=2
	s_mov_b64 s[38:39], exec
	v_mbcnt_lo_u32_b32 v3, s38, 0
	v_mbcnt_hi_u32_b32 v3, s39, v3
	v_cmp_eq_u32_e32 vcc, 0, v3
	s_waitcnt vmcnt(0) lgkmcnt(0)
	buffer_wbinvl1_vol
	s_and_saveexec_b64 s[36:37], vcc
	s_cbranch_execz .LBB2_548
; %bb.547:                              ;   in Loop: Header=BB2_496 Depth=2
	s_bcnt1_i32_b64 vcc_lo, s[38:39]
	v_mov_b32_e32 v4, vcc_lo
	v_mov_b32_e32 v5, v52
	ds_add_u64 v0, v[4:5]
	s_trap 2
.LBB2_548:                              ;   in Loop: Header=BB2_496 Depth=2
	s_or_b64 exec, exec, s[36:37]
	s_trap 2
	ds_read_b64 v[4:5], v0
	v_add_co_u32_e32 v48, vcc, v48, v54
	v_addc_co_u32_e32 v49, vcc, 0, v49, vcc
	s_waitcnt lgkmcnt(0)
	v_cmp_lt_u64_e32 vcc, v[4:5], v[48:49]
	s_and_saveexec_b64 s[36:37], vcc
	s_cbranch_execz .LBB2_557
; %bb.549:                              ;   in Loop: Header=BB2_496 Depth=2
	s_mov_b32 s68, 0
	s_mov_b64 s[38:39], 0
                                        ; implicit-def: $sgpr40_sgpr41
                                        ; implicit-def: $sgpr42_sgpr43
	s_branch .LBB2_551
.LBB2_550:                              ;   in Loop: Header=BB2_551 Depth=3
	s_or_b64 exec, exec, s[66:67]
	s_and_b64 vcc, exec, vcc
	s_or_b64 s[38:39], vcc, s[38:39]
	s_andn2_b64 vcc, s[40:41], exec
	s_and_b64 s[40:41], s[42:43], exec
	s_or_b64 s[40:41], vcc, s[40:41]
	s_andn2_b64 exec, exec, s[38:39]
	s_cbranch_execz .LBB2_555
.LBB2_551:                              ;   Parent Loop BB2_47 Depth=1
                                        ;     Parent Loop BB2_496 Depth=2
                                        ; =>    This Inner Loop Header: Depth=3
	s_add_i32 s68, s68, 1
	s_cmpk_lg_i32 s68, 0x2710
	s_cselect_b64 s[44:45], -1, 0
	s_and_b64 vcc, exec, s[44:45]
                                        ; implicit-def: $sgpr66_sgpr67
	s_cbranch_vccnz .LBB2_553
; %bb.552:                              ;   in Loop: Header=BB2_551 Depth=3
	s_trap 2
	ds_read_b64 v[4:5], v0
	s_andn2_b64 s[44:45], s[44:45], exec
	s_mov_b32 s68, 0
	s_mov_b64 s[66:67], -1
	s_waitcnt lgkmcnt(0)
	flat_load_dword v3, v[4:5] glc
	s_waitcnt vmcnt(0) lgkmcnt(0)
	buffer_invl2
	buffer_wbinvl1_vol
	v_cmp_eq_u32_e32 vcc, 0, v3
	s_and_b64 vcc, vcc, exec
	s_or_b64 s[44:45], s[44:45], vcc
.LBB2_553:                              ;   in Loop: Header=BB2_551 Depth=3
	s_andn2_b64 s[42:43], s[42:43], exec
	s_and_b64 s[66:67], s[66:67], exec
	s_mov_b64 vcc, -1
	s_or_b64 s[42:43], s[42:43], s[66:67]
	s_and_saveexec_b64 s[66:67], s[44:45]
	s_cbranch_execz .LBB2_550
; %bb.554:                              ;   in Loop: Header=BB2_551 Depth=3
	s_sleep 1
	s_trap 2
	ds_read_b64 v[4:5], v0
	s_andn2_b64 s[42:43], s[42:43], exec
	s_waitcnt lgkmcnt(0)
	v_cmp_ge_u64_e32 vcc, v[4:5], v[48:49]
	s_orn2_b64 vcc, vcc, exec
	s_branch .LBB2_550
.LBB2_555:                              ;   in Loop: Header=BB2_496 Depth=2
	s_or_b64 exec, exec, s[38:39]
	s_and_saveexec_b64 vcc, s[40:41]
	s_xor_b64 vcc, exec, vcc
	s_cbranch_execz .LBB2_557
; %bb.556:                              ;   in Loop: Header=BB2_496 Depth=2
	ds_write_b32 v0, v26
	s_trap 2
.LBB2_557:                              ;   in Loop: Header=BB2_496 Depth=2
	s_or_b64 exec, exec, s[36:37]
	;;#ASMSTART
	s_wakeup
	;;#ASMEND
.LBB2_558:                              ;   in Loop: Header=BB2_496 Depth=2
	s_or_b64 exec, exec, s[34:35]
.LBB2_559:                              ;   in Loop: Header=BB2_496 Depth=2
	s_andn2_saveexec_b64 vcc, s[30:31]
	s_cbranch_execz .LBB2_561
; %bb.560:                              ;   in Loop: Header=BB2_496 Depth=2
	s_waitcnt vmcnt(0) lgkmcnt(0)
	buffer_wbinvl1_vol
	s_barrier
.LBB2_561:                              ;   in Loop: Header=BB2_496 Depth=2
	s_or_b64 exec, exec, vcc
.LBB2_562:                              ;   in Loop: Header=BB2_496 Depth=2
	s_or_b64 exec, exec, s[28:29]
	s_trap 2
	ds_read_b64 v[4:5], v0
	v_mov_b32_e32 v23, 0
	s_waitcnt lgkmcnt(0)
	v_readfirstlane_b32 s28, v4
	v_readfirstlane_b32 s29, v5
	s_cmp_eq_u64 s[28:29], 0
	s_cselect_b64 s[28:29], -1, 0
	s_or_b64 s[28:29], s[28:29], s[28:29]
	s_and_b64 vcc, exec, s[28:29]
	s_cbranch_vccnz .LBB2_633
; %bb.563:                              ;   in Loop: Header=BB2_496 Depth=2
	s_trap 2
	ds_read_b64 v[4:5], v0
	v_cmp_eq_u32_e32 vcc, 0, v8
	v_cndmask_b32_e32 v23, 0, v2, vcc
	v_lshlrev_b32_e32 v11, 2, v23
	s_waitcnt lgkmcnt(0)
	v_cmp_ne_u64_e32 vcc, 0, v[4:5]
	s_cbranch_vccz .LBB2_585
; %bb.564:                              ;   in Loop: Header=BB2_496 Depth=2
	s_mov_b64 s[30:31], -1
	s_and_saveexec_b64 s[28:29], s[22:23]
	s_cbranch_execz .LBB2_566
; %bb.565:                              ;   in Loop: Header=BB2_496 Depth=2
	ds_read_b32 v5, v0 offset:720
	s_waitcnt lgkmcnt(0)
	v_and_b32_e32 v5, 15, v5
	v_cmp_eq_u32_e32 vcc, 0, v5
	s_orn2_b64 s[30:31], vcc, exec
.LBB2_566:                              ;   in Loop: Header=BB2_496 Depth=2
	s_or_b64 exec, exec, s[28:29]
	s_and_saveexec_b64 s[28:29], s[22:23]
	s_cbranch_execz .LBB2_568
; %bb.567:                              ;   in Loop: Header=BB2_496 Depth=2
	ds_read_b32 v5, v0 offset:784
	s_waitcnt lgkmcnt(0)
	v_and_b32_e32 v5, 15, v5
	v_cmp_eq_u32_e32 vcc, 0, v5
	s_and_b64 vcc, s[30:31], vcc
	s_andn2_b64 s[30:31], s[30:31], exec
	s_and_b64 vcc, vcc, exec
	s_or_b64 s[30:31], s[30:31], vcc
.LBB2_568:                              ;   in Loop: Header=BB2_496 Depth=2
	s_or_b64 exec, exec, s[28:29]
	s_xor_b64 vcc, s[30:31], -1
	v_cndmask_b32_e64 v5, 0, 1, vcc
	s_mov_b64 s[28:29], -1
	;;#ASMSTART
	;;#ASMEND
	v_cmp_ne_u32_e32 vcc, 0, v5
	s_cbranch_vccz .LBB2_586
; %bb.569:                              ;   in Loop: Header=BB2_496 Depth=2
	v_alignbit_b32 v5, v4, v4, 1
	v_readfirstlane_b32 s28, v5
	s_and_b32 s86, s28, 0x7fffffff
	s_mov_b64 s[66:67], -1
	s_mov_b32 s30, 0
	s_cbranch_execnz .LBB2_587
.LBB2_570:                              ;   in Loop: Header=BB2_496 Depth=2
	v_ashrrev_i32_e32 v5, 31, v11
	v_lshrrev_b32_e32 v5, 21, v5
	v_add_u32_e32 v5, v11, v5
	v_ashrrev_i32_e32 v3, 11, v5
	v_alignbit_b32 v5, v4, v4, 1
	v_readfirstlane_b32 s28, v5
	v_sub_u32_e32 v53, v3, v57
	s_and_b32 s86, s28, 0x7fffffff
	v_cmp_lt_i32_e32 vcc, 0, v53
	s_and_saveexec_b64 s[68:69], vcc
	s_cbranch_execz .LBB2_574
; %bb.571:                              ;   in Loop: Header=BB2_496 Depth=2
	v_cvt_f32_u32_e32 v8, s86
	v_accvgpr_write_b32 a40, v11
	s_trap 2
	s_sub_i32 s28, 0, s86
	v_rcp_iflag_f32_e32 v12, v8
	ds_read_b128 v[8:11], v0
	v_accvgpr_read_b32 v14, a26
	v_accvgpr_write_b32 a41, v3
	v_mul_f32_e32 v12, 0x4f7ffffe, v12
	v_cvt_u32_f32_e32 v12, v12
	s_waitcnt lgkmcnt(0)
	v_add_co_u32_e32 v40, vcc, v8, v14
	v_accvgpr_read_b32 v3, a27
	v_readfirstlane_b32 s29, v12
	s_mul_i32 s28, s28, s29
	s_mul_hi_u32 s28, s29, s28
	s_add_i32 s29, s29, s28
	s_mul_hi_u32 s28, s29, -1
	s_mul_i32 s29, s28, s86
	v_accvgpr_write_b32 a24, v41
	v_addc_co_u32_e32 v41, vcc, v9, v3, vcc
	s_not_b32 s29, s29
	s_add_i32 vcc_lo, s28, 1
	s_sub_i32 vcc_hi, s29, s86
	s_cmp_ge_u32 s29, s86
	s_cselect_b32 s28, vcc_lo, s28
	s_cselect_b32 s29, vcc_hi, s29
	s_add_i32 vcc_lo, s28, 1
	s_cmp_ge_u32 s29, s86
	s_cselect_b32 s87, vcc_lo, s28
	v_add_co_u32_e32 v26, vcc, v10, v14
	v_addc_co_u32_e32 v27, vcc, v11, v3, vcc
	v_accvgpr_write_b32 a37, v23
	v_accvgpr_write_b32 a22, v57
	s_mov_b64 s[70:71], 0
	v_pk_mov_b32 v[58:59], v[40:41], v[40:41] op_sel:[0,1]
	v_pk_mov_b32 v[56:57], v[26:27], v[26:27] op_sel:[0,1]
.LBB2_572:                              ;   Parent Loop BB2_47 Depth=1
                                        ;     Parent Loop BB2_496 Depth=2
                                        ; =>    This Inner Loop Header: Depth=3
	global_load_dwordx4 v[16:19], v[26:27], off glc slc
	global_load_dwordx4 v[20:23], v[40:41], off glc slc
	global_load_dwordx4 v[8:11], v[40:41], off offset:1024 glc slc
	global_load_dwordx4 v[12:15], v[26:27], off offset:1024 glc slc
	v_add_co_u32_e32 v40, vcc, v40, v29
	v_addc_co_u32_e32 v41, vcc, v41, v55, vcc
	v_add_co_u32_e32 v26, vcc, v26, v29
	v_addc_co_u32_e32 v27, vcc, v27, v55, vcc
	v_sub_u32_e32 v53, v53, v54
	v_cmp_gt_i32_e32 vcc, 1, v53
	s_or_b64 s[70:71], vcc, s[70:71]
	s_waitcnt vmcnt(0)
	v_add_u32_e32 v16, v16, v20
	v_add_co_u32_e32 v20, vcc, 0, v20
	v_addc_co_u32_e32 v17, vcc, v17, v21, vcc
	v_add_co_u32_e32 v20, vcc, 0, v22
	v_addc_co_u32_e32 v19, vcc, v19, v23, vcc
	v_add_u32_e32 v12, v12, v8
	v_add_co_u32_e32 v8, vcc, 0, v8
	v_addc_co_u32_e32 v8, vcc, v13, v9, vcc
	v_add_u32_e32 v9, v14, v10
	v_add_co_u32_e32 v10, vcc, 0, v10
	v_addc_co_u32_e32 v10, vcc, v15, v11, vcc
	v_and_b32_e32 v11, v5, v16
	v_sub_u32_e32 v13, 0, v16
	v_and_b32_e32 v3, v5, v10
	v_cmp_lt_i32_e32 vcc, -1, v11
	v_add_u32_e32 v18, v18, v22
	v_and_b32_e32 v14, v5, v17
	v_and_b32_e32 v22, v5, v19
	v_sub_u32_e32 v25, 0, v10
	v_cndmask_b32_e32 v11, v13, v16, vcc
	v_cmp_lt_i32_e64 s[42:43], -1, v3
	v_sub_u32_e32 v15, 0, v17
	v_sub_u32_e32 v23, 0, v19
	v_cmp_lt_i32_e64 s[28:29], -1, v14
	v_cmp_lt_i32_e64 s[34:35], -1, v22
	v_cndmask_b32_e64 v3, v25, v10, s[42:43]
	v_mul_hi_u32 v10, v11, s87
	v_and_b32_e32 v20, v5, v18
	v_cndmask_b32_e64 v13, v15, v17, s[28:29]
	v_cndmask_b32_e64 v15, v23, v19, s[34:35]
	v_mul_lo_u32 v23, s86, v10
	v_sub_u32_e32 v21, 0, v18
	v_cmp_lt_i32_e64 s[30:31], -1, v20
	v_mul_hi_u32 v16, v13, s87
	v_sub_u32_e32 v11, v11, v23
	v_cndmask_b32_e64 v14, v21, v18, s[30:31]
	v_mul_lo_u32 v25, s86, v16
	v_cmp_le_u32_e64 s[44:45], s86, v11
	v_and_b32_e32 v38, v5, v12
	v_mul_hi_u32 v17, v14, s87
	v_sub_u32_e32 v13, v13, v25
	v_addc_co_u32_e64 v10, s[44:45], 0, v10, s[44:45]
	v_cmp_lt_i32_e64 s[36:37], -1, v38
	v_mul_lo_u32 v38, s86, v17
	v_cmp_le_u32_e64 s[44:45], s86, v13
	v_sub_u32_e32 v39, 0, v12
	v_mul_hi_u32 v18, v15, s87
	v_sub_u32_e32 v14, v14, v38
	v_addc_co_u32_e64 v11, s[44:45], 0, v16, s[44:45]
	v_and_b32_e32 v44, v5, v8
	v_cndmask_b32_e64 v12, v39, v12, s[36:37]
	v_mul_lo_u32 v39, s86, v18
	v_cmp_le_u32_e64 s[44:45], s86, v14
	v_sub_u32_e32 v45, 0, v8
	v_cmp_lt_i32_e64 s[38:39], -1, v44
	v_mul_hi_u32 v19, v12, s87
	v_sub_u32_e32 v15, v15, v39
	v_addc_co_u32_e64 v13, s[44:45], 0, v17, s[44:45]
	v_and_b32_e32 v46, v5, v9
	v_cndmask_b32_e64 v8, v45, v8, s[38:39]
	v_mul_lo_u32 v44, s86, v19
	v_cmp_le_u32_e64 s[44:45], s86, v15
	v_sub_u32_e32 v47, 0, v9
	v_cmp_lt_i32_e64 s[40:41], -1, v46
	v_mul_hi_u32 v20, v8, s87
	v_sub_u32_e32 v12, v12, v44
	v_addc_co_u32_e64 v14, s[44:45], 0, v18, s[44:45]
	v_cndmask_b32_e64 v9, v47, v9, s[40:41]
	v_mul_lo_u32 v45, s86, v20
	v_cmp_le_u32_e64 s[44:45], s86, v12
	v_mul_hi_u32 v21, v9, s87
	v_sub_u32_e32 v8, v8, v45
	v_addc_co_u32_e64 v12, s[44:45], 0, v19, s[44:45]
	v_mul_lo_u32 v46, s86, v21
	v_cmp_le_u32_e64 s[44:45], s86, v8
	v_mul_hi_u32 v22, v3, s87
	v_sub_u32_e32 v9, v9, v46
	v_addc_co_u32_e64 v15, s[44:45], 0, v20, s[44:45]
	v_mul_lo_u32 v47, s86, v22
	v_cmp_le_u32_e64 s[44:45], s86, v9
	v_sub_u32_e32 v3, v3, v47
	v_addc_co_u32_e64 v16, s[44:45], 0, v21, s[44:45]
	v_cmp_le_u32_e64 s[44:45], s86, v3
	v_addc_co_u32_e64 v3, s[44:45], 0, v22, s[44:45]
	v_sub_u32_e32 v8, 0, v10
	v_sub_u32_e32 v9, 0, v11
	;; [unrolled: 1-line block ×8, first 2 shown]
	v_cndmask_b32_e32 v8, v8, v10, vcc
	v_cndmask_b32_e64 v9, v9, v11, s[28:29]
	v_cndmask_b32_e64 v10, v17, v13, s[30:31]
	;; [unrolled: 1-line block ×7, first 2 shown]
	global_store_dwordx4 v[58:59], v[8:11], off glc slc
	global_store_dwordx4 v[58:59], v[12:15], off offset:1024 glc slc
	global_store_dwordx4 v[56:57], v[8:11], off glc slc
	global_store_dwordx4 v[56:57], v[12:15], off offset:1024 glc slc
	v_add_co_u32_e32 v58, vcc, v58, v29
	v_addc_co_u32_e32 v59, vcc, v59, v55, vcc
	v_add_co_u32_e32 v56, vcc, v56, v29
	v_addc_co_u32_e32 v57, vcc, v57, v55, vcc
	s_andn2_b64 exec, exec, s[70:71]
	s_cbranch_execnz .LBB2_572
; %bb.573:                              ;   in Loop: Header=BB2_496 Depth=2
	s_or_b64 exec, exec, s[70:71]
	v_accvgpr_read_b32 v39, a13
	v_accvgpr_read_b32 v47, a15
	;; [unrolled: 1-line block ×16, first 2 shown]
.LBB2_574:                              ;   in Loop: Header=BB2_496 Depth=2
	s_or_b64 exec, exec, s[68:69]
	v_lshlrev_b32_e32 v26, 11, v3
	v_cmp_ne_u32_e32 vcc, v11, v26
                                        ; implicit-def: $vgpr17
                                        ; implicit-def: $vgpr16
                                        ; implicit-def: $vgpr18
                                        ; implicit-def: $vgpr8
	s_and_saveexec_b64 s[40:41], vcc
	s_cbranch_execz .LBB2_584
; %bb.575:                              ;   in Loop: Header=BB2_496 Depth=2
	v_lshlrev_b32_e32 v8, 6, v53
	v_sub_u32_e32 v8, v41, v8
	v_ashrrev_i32_e32 v9, 31, v8
	v_lshrrev_b32_e32 v9, 26, v9
	v_add_u32_e32 v9, v8, v9
	v_sub_u32_e32 v3, v11, v26
	v_ashrrev_i32_e32 v10, 6, v9
	v_and_b32_e32 v9, 0xffffffc0, v9
	v_sub_u32_e32 v27, v8, v9
	v_ashrrev_i32_e32 v9, 31, v3
	v_lshrrev_b32_e32 v9, 22, v9
	v_add_u32_e32 v9, v3, v9
	v_and_b32_e32 v53, 0xfffffc00, v9
	v_accvgpr_write_b32 a22, v41
	v_lshlrev_b32_e32 v8, 4, v27
	v_sub_u32_e32 v41, v3, v53
	v_accvgpr_write_b32 a37, v11
	v_lshl_add_u32 v8, v10, 10, v8
	v_ashrrev_i32_e32 v11, 10, v9
	v_cmp_lt_i32_e64 s[28:29], 15, v41
	v_sub_u32_e32 v56, v3, v8
	v_addc_co_u32_e64 v3, vcc, 0, v11, s[28:29]
	v_sub_u32_e32 v40, v3, v10
	v_cmp_lt_i32_e32 vcc, 15, v56
	s_and_saveexec_b64 s[42:43], vcc
	s_cbranch_execz .LBB2_581
; %bb.576:                              ;   in Loop: Header=BB2_496 Depth=2
	v_cvt_f32_u32_e32 v3, s86
	s_sub_i32 vcc_lo, 0, s86
	v_add_u32_e32 v12, v8, v26
	s_trap 2
	v_rcp_iflag_f32_e32 v3, v3
	ds_read_b128 v[8:11], v0
	v_ashrrev_i32_e32 v13, 31, v12
	v_accvgpr_write_b32 a24, v23
	v_mul_f32_e32 v3, 0x4f7ffffe, v3
	v_cvt_u32_f32_e32 v3, v3
	s_mov_b64 s[44:45], 0
	v_readfirstlane_b32 vcc_hi, v3
	s_mul_i32 vcc_lo, vcc_lo, vcc_hi
	s_mul_hi_u32 vcc_lo, vcc_hi, vcc_lo
	s_add_i32 vcc_hi, vcc_hi, vcc_lo
	s_mul_hi_u32 vcc_lo, vcc_hi, -1
	s_mul_i32 vcc_hi, vcc_lo, s86
	s_not_b32 vcc_hi, vcc_hi
	s_add_i32 s30, vcc_lo, 1
	s_sub_i32 s31, vcc_hi, s86
	s_cmp_ge_u32 vcc_hi, s86
	s_cselect_b32 vcc_lo, s30, vcc_lo
	s_cselect_b32 vcc_hi, s31, vcc_hi
	s_add_i32 s30, vcc_lo, 1
	s_cmp_ge_u32 vcc_hi, s86
	s_cselect_b32 s70, s30, vcc_lo
	s_waitcnt lgkmcnt(0)
	v_add_co_u32_e32 v16, vcc, v8, v12
	v_addc_co_u32_e32 v17, vcc, v9, v13, vcc
	v_add_co_u32_e32 v18, vcc, v10, v12
	v_addc_co_u32_e32 v19, vcc, v11, v13, vcc
	v_pk_mov_b32 v[20:21], v[16:17], v[16:17] op_sel:[0,1]
	v_pk_mov_b32 v[22:23], v[18:19], v[18:19] op_sel:[0,1]
.LBB2_577:                              ;   Parent Loop BB2_47 Depth=1
                                        ;     Parent Loop BB2_496 Depth=2
                                        ; =>    This Loop Header: Depth=3
                                        ;         Child Loop BB2_578 Depth 4
	global_load_dwordx4 v[8:11], v[20:21], off glc slc
	global_load_dwordx4 v[12:15], v[22:23], off glc slc
	s_mov_b64 s[68:69], -1
	s_waitcnt vmcnt(0)
	v_add_u32_e32 v3, v12, v8
	v_add_co_u32_e32 v8, vcc, 0, v8
	v_addc_co_u32_e32 v8, vcc, v13, v9, vcc
	v_add_u32_e32 v9, v14, v10
	v_add_co_u32_e32 v10, vcc, 0, v10
	v_addc_co_u32_e32 v10, vcc, v15, v11, vcc
	v_and_b32_e32 v11, v5, v3
	v_sub_u32_e32 v12, 0, v3
	v_cmp_lt_i32_e32 vcc, -1, v11
	v_and_b32_e32 v13, v5, v8
	v_cndmask_b32_e32 v3, v12, v3, vcc
	v_sub_u32_e32 v14, 0, v8
	v_and_b32_e32 v15, v5, v9
	v_cmp_lt_i32_e64 s[30:31], -1, v13
	v_mul_hi_u32 v11, v3, s70
	v_cndmask_b32_e64 v8, v14, v8, s[30:31]
	v_cmp_lt_i32_e64 s[34:35], -1, v15
	v_mul_lo_u32 v15, s86, v11
	v_sub_u32_e32 v25, 0, v9
	v_mul_hi_u32 v12, v8, s70
	v_sub_u32_e32 v3, v3, v15
	v_and_b32_e32 v38, v5, v10
	v_cndmask_b32_e64 v9, v25, v9, s[34:35]
	v_mul_lo_u32 v25, s86, v12
	v_cmp_le_u32_e64 s[38:39], s86, v3
	v_sub_u32_e32 v39, 0, v10
	v_cmp_lt_i32_e64 s[36:37], -1, v38
	v_mul_hi_u32 v13, v9, s70
	v_sub_u32_e32 v8, v8, v25
	v_addc_co_u32_e64 v3, s[38:39], 0, v11, s[38:39]
	v_cndmask_b32_e64 v10, v39, v10, s[36:37]
	v_mul_lo_u32 v38, s86, v13
	v_cmp_le_u32_e64 s[38:39], s86, v8
	v_mul_hi_u32 v14, v10, s70
	v_sub_u32_e32 v9, v9, v38
	v_addc_co_u32_e64 v11, s[38:39], 0, v12, s[38:39]
	v_mul_lo_u32 v39, s86, v14
	v_cmp_le_u32_e64 s[38:39], s86, v9
	v_sub_u32_e32 v10, v10, v39
	v_addc_co_u32_e64 v12, s[38:39], 0, v13, s[38:39]
	v_cmp_le_u32_e64 s[38:39], s86, v10
	v_addc_co_u32_e64 v13, s[38:39], 0, v14, s[38:39]
	v_sub_u32_e32 v8, 0, v3
	v_sub_u32_e32 v9, 0, v11
	;; [unrolled: 1-line block ×4, first 2 shown]
	v_cndmask_b32_e32 v8, v8, v3, vcc
	v_cndmask_b32_e64 v9, v9, v11, s[30:31]
	v_cndmask_b32_e64 v10, v10, v12, s[34:35]
	;; [unrolled: 1-line block ×3, first 2 shown]
	s_mov_b64 s[38:39], 0
.LBB2_578:                              ;   Parent Loop BB2_47 Depth=1
                                        ;     Parent Loop BB2_496 Depth=2
                                        ;       Parent Loop BB2_577 Depth=3
                                        ; =>      This Inner Loop Header: Depth=4
	s_cmp_eq_u32 s38, 0
	s_cselect_b64 s[30:31], -1, 0
	s_cmp_eq_u32 s38, 1
	s_cselect_b64 s[36:37], -1, 0
	v_cndmask_b32_e64 v3, 0, 1, s[68:69]
	v_cndmask_b32_e64 v12, v16, v18, s[36:37]
	v_cmp_ne_u32_e64 s[34:35], 1, v3
	v_cndmask_b32_e64 v13, v17, v19, s[36:37]
	v_add_co_u32_e32 v3, vcc, 0x400, v12
	global_store_dwordx4 v[12:13], v[8:11], off glc slc
	v_addc_co_u32_e32 v12, vcc, 0, v13, vcc
	s_mov_b64 s[68:69], 0
	s_mov_b64 s[38:39], 1
	v_cndmask_b32_e64 v18, v18, v3, s[36:37]
	s_and_b64 vcc, exec, s[34:35]
	v_cndmask_b32_e64 v19, v19, v12, s[36:37]
	v_cndmask_b32_e64 v17, v17, v12, s[30:31]
	;; [unrolled: 1-line block ×3, first 2 shown]
	s_cbranch_vccz .LBB2_578
; %bb.579:                              ;   in Loop: Header=BB2_577 Depth=3
	v_add_co_u32_e32 v20, vcc, v20, v0
	v_addc_co_u32_e32 v21, vcc, v21, v60, vcc
	v_add_co_u32_e32 v22, vcc, v22, v0
	v_addc_co_u32_e32 v23, vcc, v23, v60, vcc
	;; [unrolled: 2-line block ×4, first 2 shown]
	v_sub_u32_e32 v56, v56, v42
	v_cmp_gt_i32_e32 vcc, 16, v56
	s_or_b64 s[44:45], vcc, s[44:45]
	v_sub_u32_e32 v40, v40, v54
	s_andn2_b64 exec, exec, s[44:45]
	s_cbranch_execnz .LBB2_577
; %bb.580:                              ;   in Loop: Header=BB2_496 Depth=2
	s_or_b64 exec, exec, s[44:45]
	v_accvgpr_read_b32 v20, a28
	v_accvgpr_read_b32 v21, a29
	;; [unrolled: 1-line block ×3, first 2 shown]
.LBB2_581:                              ;   in Loop: Header=BB2_496 Depth=2
	s_or_b64 exec, exec, s[42:43]
	v_accvgpr_read_b32 v11, a37
	v_and_b32_e32 v9, 12, v11
	v_cndmask_b32_e64 v17, v41, v9, s[28:29]
	v_cmp_ne_u32_e32 vcc, 0, v17
	s_mov_b64 s[30:31], s[66:67]
                                        ; implicit-def: $vgpr16
                                        ; implicit-def: $vgpr18
                                        ; implicit-def: $vgpr8
	s_and_saveexec_b64 s[34:35], vcc
	s_cbranch_execz .LBB2_583
; %bb.582:                              ;   in Loop: Header=BB2_496 Depth=2
	v_sub_u32_e32 v3, v41, v9
	v_cndmask_b32_e64 v3, 0, v3, s[28:29]
	v_cmp_lt_i32_e32 vcc, 0, v40
	v_add3_u32 v16, v53, v26, v3
	v_cndmask_b32_e32 v3, 0, v54, vcc
	v_sub_u32_e32 v3, v3, v40
	v_lshl_add_u32 v3, v3, 6, v27
	v_ashrrev_i32_e32 v8, 31, v3
	v_lshrrev_b32_e32 v8, 26, v8
	v_add_u32_e32 v9, v3, v8
	v_ashrrev_i32_e32 v8, 6, v9
	v_and_b32_e32 v9, 0xffffffc0, v9
	v_sub_u32_e32 v18, v3, v9
	s_or_b64 s[30:31], s[66:67], exec
.LBB2_583:                              ;   in Loop: Header=BB2_496 Depth=2
	s_or_b64 exec, exec, s[34:35]
	s_andn2_b64 s[28:29], s[66:67], exec
	s_and_b64 vcc, s[30:31], exec
	v_accvgpr_read_b32 v39, a13
	s_or_b64 s[66:67], s[28:29], vcc
	v_accvgpr_read_b32 v38, a12
	v_accvgpr_read_b32 v40, a16
	;; [unrolled: 1-line block ×3, first 2 shown]
.LBB2_584:                              ;   in Loop: Header=BB2_496 Depth=2
	s_or_b64 exec, exec, s[40:41]
	v_accvgpr_read_b32 v27, a23
	v_mov_b32_e32 v26, 1
	v_accvgpr_read_b32 v53, a36
	s_and_saveexec_b64 s[38:39], s[66:67]
	s_cbranch_execnz .LBB2_588
	s_branch .LBB2_601
.LBB2_585:                              ;   in Loop: Header=BB2_496 Depth=2
	s_cbranch_execnz .LBB2_602
	s_branch .LBB2_633
.LBB2_586:                              ;   in Loop: Header=BB2_496 Depth=2
	s_mov_b64 s[66:67], 0
                                        ; implicit-def: $sgpr30
                                        ; implicit-def: $vgpr5
                                        ; implicit-def: $sgpr86
	s_andn2_b64 vcc, exec, s[28:29]
	s_cbranch_vccz .LBB2_570
.LBB2_587:                              ;   in Loop: Header=BB2_496 Depth=2
	v_mov_b32_e32 v16, s30
	v_mov_b32_e32 v17, v11
	;; [unrolled: 1-line block ×4, first 2 shown]
	s_and_saveexec_b64 s[38:39], s[66:67]
	s_cbranch_execz .LBB2_601
.LBB2_588:                              ;   in Loop: Header=BB2_496 Depth=2
	v_lshlrev_b32_e32 v3, 2, v18
	v_lshl_add_u32 v9, v8, 8, v3
	v_ashrrev_i32_e32 v3, 31, v17
	v_add_u32_sdwa v3, v17, v3 dst_sel:DWORD dst_unused:UNUSED_PAD src0_sel:DWORD src1_sel:BYTE_3
	v_and_b32_e32 v20, 0xffffff00, v3
	v_ashrrev_i32_e32 v10, 8, v3
	v_sub_u32_e32 v19, v17, v20
	v_sub_u32_e32 v3, v10, v8
	v_cmp_lt_i32_e64 s[28:29], 3, v19
	v_sub_u32_e32 v22, v17, v9
	v_addc_co_u32_e64 v21, vcc, 0, v3, s[28:29]
	v_accvgpr_write_b32 a24, v11
	v_cmp_lt_i32_e32 vcc, 3, v22
	s_and_saveexec_b64 s[40:41], vcc
	s_cbranch_execz .LBB2_594
; %bb.589:                              ;   in Loop: Header=BB2_496 Depth=2
	v_cvt_f32_u32_e32 v3, s86
	s_sub_i32 vcc_lo, 0, s86
	v_add_u32_e32 v12, v9, v16
	s_trap 2
	v_rcp_iflag_f32_e32 v3, v3
	ds_read_b128 v[8:11], v0
	v_ashrrev_i32_e32 v13, 31, v12
	v_accvgpr_write_b32 a22, v23
	v_mul_f32_e32 v3, 0x4f7ffffe, v3
	v_cvt_u32_f32_e32 v3, v3
	s_mov_b64 s[42:43], 0
	v_readfirstlane_b32 vcc_hi, v3
	s_mul_i32 vcc_lo, vcc_lo, vcc_hi
	s_mul_hi_u32 vcc_lo, vcc_hi, vcc_lo
	s_add_i32 vcc_hi, vcc_hi, vcc_lo
	s_mul_hi_u32 vcc_lo, vcc_hi, -1
	s_mul_i32 vcc_hi, vcc_lo, s86
	s_not_b32 vcc_hi, vcc_hi
	s_add_i32 s30, vcc_lo, 1
	s_sub_i32 s31, vcc_hi, s86
	s_cmp_ge_u32 vcc_hi, s86
	s_cselect_b32 vcc_lo, s30, vcc_lo
	s_cselect_b32 vcc_hi, s31, vcc_hi
	s_add_i32 s30, vcc_lo, 1
	s_cmp_ge_u32 vcc_hi, s86
	s_cselect_b32 s68, s30, vcc_lo
	s_waitcnt lgkmcnt(0)
	v_add_co_u32_e32 v8, vcc, v8, v12
	v_addc_co_u32_e32 v9, vcc, v9, v13, vcc
	v_add_co_u32_e32 v10, vcc, v10, v12
	v_addc_co_u32_e32 v11, vcc, v11, v13, vcc
	v_pk_mov_b32 v[12:13], v[8:9], v[8:9] op_sel:[0,1]
	v_pk_mov_b32 v[14:15], v[10:11], v[10:11] op_sel:[0,1]
.LBB2_590:                              ;   Parent Loop BB2_47 Depth=1
                                        ;     Parent Loop BB2_496 Depth=2
                                        ; =>    This Loop Header: Depth=3
                                        ;         Child Loop BB2_591 Depth 4
	flat_load_dword v3, v[12:13] glc slc
	flat_load_dword v23, v[14:15] glc slc
	s_mov_b64 s[66:67], -1
	s_mov_b64 s[44:45], 0
	s_waitcnt vmcnt(0) lgkmcnt(0)
	v_add_u32_e32 v3, v23, v3
	v_and_b32_e32 v23, v3, v5
	v_sub_u32_e32 v25, 0, v3
	v_cmp_lt_i32_e32 vcc, -1, v23
	v_cndmask_b32_e32 v3, v25, v3, vcc
	v_mul_hi_u32 v23, v3, s68
	v_mul_lo_u32 v25, s86, v23
	v_sub_u32_e32 v3, v3, v25
	v_cmp_le_u32_e64 s[30:31], s86, v3
	v_addc_co_u32_e64 v3, s[30:31], 0, v23, s[30:31]
	v_sub_u32_e32 v23, 0, v3
	v_cndmask_b32_e32 v23, v23, v3, vcc
.LBB2_591:                              ;   Parent Loop BB2_47 Depth=1
                                        ;     Parent Loop BB2_496 Depth=2
                                        ;       Parent Loop BB2_590 Depth=3
                                        ; =>      This Inner Loop Header: Depth=4
	s_cmp_eq_u32 s44, 0
	s_cselect_b64 s[30:31], -1, 0
	s_cmp_eq_u32 s44, 1
	s_cselect_b64 s[36:37], -1, 0
	v_cndmask_b32_e64 v3, 0, 1, s[66:67]
	v_cndmask_b32_e64 v26, v8, v10, s[36:37]
	v_cmp_ne_u32_e64 s[34:35], 1, v3
	v_cndmask_b32_e64 v27, v9, v11, s[36:37]
	v_add_co_u32_e32 v3, vcc, 0x100, v26
	v_addc_co_u32_e32 v25, vcc, 0, v27, vcc
	s_mov_b64 s[66:67], 0
	s_mov_b64 s[44:45], 1
	v_cndmask_b32_e64 v10, v10, v3, s[36:37]
	s_and_b64 vcc, exec, s[34:35]
	v_cndmask_b32_e64 v11, v11, v25, s[36:37]
	v_cndmask_b32_e64 v9, v9, v25, s[30:31]
	;; [unrolled: 1-line block ×3, first 2 shown]
	flat_store_dword v[26:27], v23 glc slc
	s_cbranch_vccz .LBB2_591
; %bb.592:                              ;   in Loop: Header=BB2_590 Depth=3
	v_add_co_u32_e32 v12, vcc, v12, v61
	v_addc_co_u32_e32 v13, vcc, v13, v28, vcc
	v_add_co_u32_e32 v14, vcc, v14, v61
	v_addc_co_u32_e32 v15, vcc, v15, v28, vcc
	v_add_co_u32_e32 v8, vcc, v8, v40
	v_accvgpr_read_b32 v27, a23
	v_addc_co_u32_e32 v9, vcc, v9, v27, vcc
	v_add_co_u32_e32 v10, vcc, v10, v40
	v_addc_co_u32_e32 v11, vcc, v11, v27, vcc
	v_sub_u32_e32 v22, v22, v43
	v_cmp_gt_i32_e32 vcc, 4, v22
	s_or_b64 s[42:43], vcc, s[42:43]
	v_sub_u32_e32 v21, v21, v54
	s_andn2_b64 exec, exec, s[42:43]
	s_cbranch_execnz .LBB2_590
; %bb.593:                              ;   in Loop: Header=BB2_496 Depth=2
	s_or_b64 exec, exec, s[42:43]
	v_mov_b32_e32 v26, 1
	v_accvgpr_read_b32 v23, a22
.LBB2_594:                              ;   in Loop: Header=BB2_496 Depth=2
	s_or_b64 exec, exec, s[40:41]
	v_and_b32_e32 v9, 3, v17
	v_cndmask_b32_e64 v10, v19, v9, s[28:29]
	v_cmp_ne_u32_e32 vcc, 0, v10
	s_and_saveexec_b64 s[36:37], vcc
	s_cbranch_execz .LBB2_600
; %bb.595:                              ;   in Loop: Header=BB2_496 Depth=2
	v_cmp_lt_i32_e32 vcc, 0, v21
	v_cndmask_b32_e32 v3, 0, v54, vcc
	v_sub_u32_e32 v3, v3, v21
	v_lshl_add_u32 v3, v3, 6, v18
	v_ashrrev_i32_e32 v8, 31, v3
	v_lshrrev_b32_e32 v8, 26, v8
	v_add_u32_e32 v8, v3, v8
	v_and_b32_e32 v11, 0x3fffffc0, v8
	v_lshlrev_b32_e32 v8, 2, v8
	v_sub_u32_e32 v3, v3, v11
	v_and_b32_e32 v8, 0xffffff00, v8
	v_lshl_add_u32 v8, v3, 2, v8
	v_sub_u32_e32 v17, v10, v8
	v_cmp_lt_i32_e32 vcc, 3, v17
	s_and_b64 exec, exec, vcc
	s_cbranch_execz .LBB2_600
; %bb.596:                              ;   in Loop: Header=BB2_496 Depth=2
	v_cvt_f32_u32_e32 v3, s86
	v_sub_u32_e32 v9, v19, v9
	s_sub_i32 vcc_lo, 0, s86
	v_cndmask_b32_e64 v9, 0, v9, s[28:29]
	v_rcp_iflag_f32_e32 v3, v3
	s_trap 2
	ds_read_b128 v[10:13], v0
	v_add_u32_e32 v14, v20, v16
	v_mul_f32_e32 v3, 0x4f7ffffe, v3
	v_cvt_u32_f32_e32 v3, v3
	v_add3_u32 v14, v14, v9, v8
	s_mov_b64 s[40:41], 0
	v_readfirstlane_b32 s28, v3
	s_mul_i32 vcc_lo, vcc_lo, s28
	s_mul_hi_u32 s29, s28, vcc_lo
	s_add_i32 s28, s28, s29
	s_mul_hi_u32 s28, s28, -1
	s_mul_i32 s29, s28, s86
	s_not_b32 s29, s29
	s_add_i32 vcc_lo, s28, 1
	s_sub_i32 vcc_hi, s29, s86
	s_cmp_ge_u32 s29, s86
	s_cselect_b32 s28, vcc_lo, s28
	s_cselect_b32 s29, vcc_hi, s29
	s_add_i32 vcc_lo, s28, 1
	s_cmp_ge_u32 s29, s86
	s_cselect_b32 s66, vcc_lo, s28
	v_ashrrev_i32_e32 v3, 31, v14
	s_waitcnt lgkmcnt(0)
	v_add_co_u32_e32 v8, vcc, v10, v14
	v_addc_co_u32_e32 v9, vcc, v11, v3, vcc
	v_add_co_u32_e32 v10, vcc, v12, v14
	v_addc_co_u32_e32 v11, vcc, v13, v3, vcc
	v_pk_mov_b32 v[12:13], v[8:9], v[8:9] op_sel:[0,1]
	v_pk_mov_b32 v[14:15], v[10:11], v[10:11] op_sel:[0,1]
.LBB2_597:                              ;   Parent Loop BB2_47 Depth=1
                                        ;     Parent Loop BB2_496 Depth=2
                                        ; =>    This Loop Header: Depth=3
                                        ;         Child Loop BB2_598 Depth 4
	flat_load_dword v3, v[12:13] glc slc
	flat_load_dword v16, v[14:15] glc slc
	s_mov_b64 s[44:45], -1
	s_mov_b64 s[42:43], 0
	s_waitcnt vmcnt(0) lgkmcnt(0)
	v_add_u32_e32 v3, v16, v3
	v_and_b32_e32 v16, v3, v5
	v_sub_u32_e32 v18, 0, v3
	v_cmp_lt_i32_e32 vcc, -1, v16
	v_cndmask_b32_e32 v3, v18, v3, vcc
	v_mul_hi_u32 v16, v3, s66
	v_mul_lo_u32 v18, s86, v16
	v_sub_u32_e32 v3, v3, v18
	v_cmp_le_u32_e64 s[28:29], s86, v3
	v_addc_co_u32_e64 v3, s[28:29], 0, v16, s[28:29]
	v_sub_u32_e32 v16, 0, v3
	v_cndmask_b32_e32 v16, v16, v3, vcc
.LBB2_598:                              ;   Parent Loop BB2_47 Depth=1
                                        ;     Parent Loop BB2_496 Depth=2
                                        ;       Parent Loop BB2_597 Depth=3
                                        ; =>      This Inner Loop Header: Depth=4
	s_cmp_eq_u32 s42, 0
	s_cselect_b64 s[28:29], -1, 0
	s_cmp_eq_u32 s42, 1
	s_cselect_b64 s[34:35], -1, 0
	v_cndmask_b32_e64 v3, 0, 1, s[44:45]
	v_cndmask_b32_e64 v18, v8, v10, s[34:35]
	v_cmp_ne_u32_e64 s[30:31], 1, v3
	v_cndmask_b32_e64 v19, v9, v11, s[34:35]
	v_add_co_u32_e32 v3, vcc, 0x100, v18
	flat_store_dword v[18:19], v16 glc slc
	v_addc_co_u32_e32 v18, vcc, 0, v19, vcc
	s_mov_b64 s[44:45], 0
	s_mov_b64 s[42:43], 1
	v_cndmask_b32_e64 v10, v10, v3, s[34:35]
	s_and_b64 vcc, exec, s[30:31]
	v_cndmask_b32_e64 v11, v11, v18, s[34:35]
	v_cndmask_b32_e64 v9, v9, v18, s[28:29]
	;; [unrolled: 1-line block ×3, first 2 shown]
	s_cbranch_vccz .LBB2_598
; %bb.599:                              ;   in Loop: Header=BB2_597 Depth=3
	v_add_co_u32_e32 v12, vcc, v12, v61
	v_addc_co_u32_e32 v13, vcc, v13, v28, vcc
	v_add_co_u32_e32 v14, vcc, v14, v61
	v_addc_co_u32_e32 v15, vcc, v15, v28, vcc
	v_add_co_u32_e32 v8, vcc, v8, v40
	v_addc_co_u32_e32 v9, vcc, v9, v27, vcc
	v_sub_u32_e32 v17, v17, v43
	v_cmp_gt_i32_e32 vcc, 4, v17
	s_or_b64 s[40:41], vcc, s[40:41]
	v_add_co_u32_e32 v10, vcc, v10, v40
	v_addc_co_u32_e32 v11, vcc, v11, v27, vcc
	s_andn2_b64 exec, exec, s[40:41]
	s_cbranch_execnz .LBB2_597
.LBB2_600:                              ;   in Loop: Header=BB2_496 Depth=2
	s_or_b64 exec, exec, s[36:37]
	v_accvgpr_read_b32 v20, a28
	v_accvgpr_read_b32 v21, a29
	;; [unrolled: 1-line block ×3, first 2 shown]
.LBB2_601:                              ;   in Loop: Header=BB2_496 Depth=2
	s_or_b64 exec, exec, s[38:39]
	v_accvgpr_read_b32 v18, a20
	v_accvgpr_read_b32 v19, a21
	s_branch .LBB2_633
.LBB2_602:                              ;   in Loop: Header=BB2_496 Depth=2
	s_mov_b64 s[30:31], -1
	s_and_saveexec_b64 s[28:29], s[22:23]
	s_cbranch_execz .LBB2_604
; %bb.603:                              ;   in Loop: Header=BB2_496 Depth=2
	ds_read_b32 v5, v0 offset:720
	s_waitcnt lgkmcnt(0)
	v_and_b32_e32 v5, 15, v5
	v_cmp_eq_u32_e32 vcc, 0, v5
	s_orn2_b64 s[30:31], vcc, exec
.LBB2_604:                              ;   in Loop: Header=BB2_496 Depth=2
	s_or_b64 exec, exec, s[28:29]
	s_and_saveexec_b64 s[28:29], s[18:19]
	s_cbranch_execz .LBB2_606
; %bb.605:                              ;   in Loop: Header=BB2_496 Depth=2
	ds_read_b32 v5, v0 offset:784
	s_waitcnt lgkmcnt(0)
	v_and_b32_e32 v5, 15, v5
	v_cmp_eq_u32_e32 vcc, 0, v5
	s_and_b64 vcc, s[30:31], vcc
	s_andn2_b64 s[30:31], s[30:31], exec
	s_and_b64 vcc, vcc, exec
	s_or_b64 s[30:31], s[30:31], vcc
.LBB2_606:                              ;   in Loop: Header=BB2_496 Depth=2
	s_or_b64 exec, exec, s[28:29]
	s_xor_b64 vcc, s[30:31], -1
	v_cndmask_b32_e64 v5, 0, 1, vcc
	s_mov_b64 s[28:29], -1
	;;#ASMSTART
	;;#ASMEND
	v_cmp_ne_u32_e32 vcc, 0, v5
	v_alignbit_b32 v56, v4, v4, 1
	s_cbranch_vccz .LBB2_621
; %bb.607:                              ;   in Loop: Header=BB2_496 Depth=2
	v_alignbit_b32 v12, v4, v4, 1
	v_readfirstlane_b32 s28, v12
	s_and_b32 s86, s28, 0x7fffffff
	s_mov_b64 s[66:67], -1
	s_mov_b32 s30, 0
	s_cbranch_execnz .LBB2_622
.LBB2_608:                              ;   in Loop: Header=BB2_496 Depth=2
	v_ashrrev_i32_e32 v4, 31, v11
	v_lshrrev_b32_e32 v4, 21, v4
	v_add_u32_e32 v4, v11, v4
	v_mov_b32_e32 v5, v57
	v_ashrrev_i32_e32 v57, 11, v4
	v_readfirstlane_b32 s28, v56
	v_sub_u32_e32 v53, v57, v5
	s_and_b32 s86, s28, 0x7fffffff
	v_mov_b32_e32 v3, v5
	v_cmp_lt_i32_e32 vcc, 0, v53
	s_and_saveexec_b64 s[68:69], vcc
	s_cbranch_execz .LBB2_612
; %bb.609:                              ;   in Loop: Header=BB2_496 Depth=2
	v_cvt_f32_u32_e32 v4, s86
	s_sub_i32 s28, 0, s86
	v_accvgpr_write_b32 a24, v11
	s_trap 2
	v_rcp_iflag_f32_e32 v4, v4
	ds_read_b128 v[8:11], v0
	ds_read_b64 v[12:13], v0
	v_accvgpr_read_b32 v14, a26
	v_accvgpr_read_b32 v15, a27
	v_mul_f32_e32 v4, 0x4f7ffffe, v4
	v_cvt_u32_f32_e32 v4, v4
	v_mov_b32_e32 v25, v41
	v_accvgpr_write_b32 a22, v23
	s_mov_b64 s[70:71], 0
	v_readfirstlane_b32 s29, v4
	s_mul_i32 s28, s28, s29
	s_mul_hi_u32 s28, s29, s28
	s_add_i32 s29, s29, s28
	s_mul_hi_u32 s28, s29, -1
	s_mul_i32 s29, s28, s86
	s_not_b32 s29, s29
	s_add_i32 vcc_lo, s28, 1
	s_sub_i32 vcc_hi, s29, s86
	s_cmp_ge_u32 s29, s86
	s_cselect_b32 s28, vcc_lo, s28
	s_cselect_b32 s29, vcc_hi, s29
	s_add_i32 vcc_lo, s28, 1
	s_cmp_ge_u32 s29, s86
	s_cselect_b32 s87, vcc_lo, s28
	s_waitcnt lgkmcnt(0)
	v_add_co_u32_e32 v4, vcc, v8, v14
	v_addc_co_u32_e32 v5, vcc, v9, v15, vcc
	v_add_co_u32_e32 v40, vcc, v10, v14
	v_addc_co_u32_e32 v41, vcc, v11, v15, vcc
	;; [unrolled: 2-line block ×3, first 2 shown]
.LBB2_610:                              ;   Parent Loop BB2_47 Depth=1
                                        ;     Parent Loop BB2_496 Depth=2
                                        ; =>    This Inner Loop Header: Depth=3
	global_load_dwordx4 v[16:19], v[40:41], off glc slc
	global_load_dwordx4 v[20:23], v[4:5], off glc slc
	global_load_dwordx4 v[8:11], v[4:5], off offset:1024 glc slc
	global_load_dwordx4 v[12:15], v[40:41], off offset:1024 glc slc
	v_add_co_u32_e32 v4, vcc, v4, v29
	v_addc_co_u32_e32 v5, vcc, v5, v55, vcc
	v_add_co_u32_e32 v40, vcc, v40, v29
	v_addc_co_u32_e32 v41, vcc, v41, v55, vcc
	v_sub_u32_e32 v53, v53, v54
	v_cmp_gt_i32_e32 vcc, 1, v53
	s_or_b64 s[70:71], vcc, s[70:71]
	s_waitcnt vmcnt(0)
	v_add_u32_e32 v16, v16, v20
	v_add_co_u32_e32 v20, vcc, 0, v20
	v_addc_co_u32_e32 v17, vcc, v17, v21, vcc
	v_add_co_u32_e32 v20, vcc, 0, v22
	v_addc_co_u32_e32 v19, vcc, v19, v23, vcc
	v_add_u32_e32 v12, v12, v8
	v_add_co_u32_e32 v8, vcc, 0, v8
	v_addc_co_u32_e32 v8, vcc, v13, v9, vcc
	v_add_u32_e32 v9, v14, v10
	v_add_co_u32_e32 v10, vcc, 0, v10
	v_addc_co_u32_e32 v10, vcc, v15, v11, vcc
	v_and_b32_e32 v11, v56, v16
	v_sub_u32_e32 v13, 0, v16
	v_cmp_lt_i32_e32 vcc, -1, v11
	v_and_b32_e32 v14, v56, v17
	v_cndmask_b32_e32 v11, v13, v16, vcc
	v_add_u32_e32 v18, v18, v22
	v_sub_u32_e32 v15, 0, v17
	v_and_b32_e32 v38, v56, v12
	v_cmp_lt_i32_e64 s[28:29], -1, v14
	v_mul_hi_u32 v16, v11, s87
	v_and_b32_e32 v20, v56, v18
	v_cndmask_b32_e64 v13, v15, v17, s[28:29]
	v_cmp_lt_i32_e64 s[36:37], -1, v38
	v_mul_lo_u32 v38, s86, v16
	v_sub_u32_e32 v21, 0, v18
	v_sub_u32_e32 v39, 0, v12
	v_cmp_lt_i32_e64 s[30:31], -1, v20
	v_mul_hi_u32 v17, v13, s87
	v_sub_u32_e32 v11, v11, v38
	v_and_b32_e32 v22, v56, v19
	v_cndmask_b32_e64 v14, v21, v18, s[30:31]
	v_cndmask_b32_e64 v12, v39, v12, s[36:37]
	v_mul_lo_u32 v39, s86, v17
	v_cmp_le_u32_e64 s[44:45], s86, v11
	v_sub_u32_e32 v23, 0, v19
	v_and_b32_e32 v44, v56, v8
	v_cmp_lt_i32_e64 s[34:35], -1, v22
	v_mul_hi_u32 v18, v14, s87
	v_sub_u32_e32 v13, v13, v39
	v_addc_co_u32_e64 v11, s[44:45], 0, v16, s[44:45]
	v_cndmask_b32_e64 v15, v23, v19, s[34:35]
	v_cmp_lt_i32_e64 s[38:39], -1, v44
	v_mul_lo_u32 v44, s86, v18
	v_cmp_le_u32_e64 s[44:45], s86, v13
	v_sub_u32_e32 v45, 0, v8
	v_mul_hi_u32 v19, v15, s87
	v_sub_u32_e32 v14, v14, v44
	v_addc_co_u32_e64 v13, s[44:45], 0, v17, s[44:45]
	v_cndmask_b32_e64 v8, v45, v8, s[38:39]
	v_mul_lo_u32 v45, s86, v19
	v_cmp_le_u32_e64 s[44:45], s86, v14
	v_and_b32_e32 v46, v56, v9
	v_mul_hi_u32 v20, v12, s87
	v_sub_u32_e32 v15, v15, v45
	v_addc_co_u32_e64 v14, s[44:45], 0, v18, s[44:45]
	v_cmp_lt_i32_e64 s[40:41], -1, v46
	v_mul_lo_u32 v46, s86, v20
	v_cmp_le_u32_e64 s[44:45], s86, v15
	v_sub_u32_e32 v47, 0, v9
	v_mul_hi_u32 v21, v8, s87
	v_sub_u32_e32 v12, v12, v46
	v_addc_co_u32_e64 v15, s[44:45], 0, v19, s[44:45]
	v_and_b32_e32 v58, v56, v10
	v_cndmask_b32_e64 v9, v47, v9, s[40:41]
	v_mul_lo_u32 v47, s86, v21
	v_cmp_le_u32_e64 s[44:45], s86, v12
	v_sub_u32_e32 v59, 0, v10
	v_cmp_lt_i32_e64 s[42:43], -1, v58
	v_mul_hi_u32 v22, v9, s87
	v_sub_u32_e32 v8, v8, v47
	v_addc_co_u32_e64 v12, s[44:45], 0, v20, s[44:45]
	v_cndmask_b32_e64 v10, v59, v10, s[42:43]
	v_mul_lo_u32 v58, s86, v22
	v_cmp_le_u32_e64 s[44:45], s86, v8
	v_mul_hi_u32 v23, v10, s87
	v_sub_u32_e32 v9, v9, v58
	v_addc_co_u32_e64 v16, s[44:45], 0, v21, s[44:45]
	v_mul_lo_u32 v59, s86, v23
	v_cmp_le_u32_e64 s[44:45], s86, v9
	v_sub_u32_e32 v10, v10, v59
	v_addc_co_u32_e64 v17, s[44:45], 0, v22, s[44:45]
	v_cmp_le_u32_e64 s[44:45], s86, v10
	v_addc_co_u32_e64 v18, s[44:45], 0, v23, s[44:45]
	v_sub_u32_e32 v8, 0, v11
	v_sub_u32_e32 v9, 0, v13
	;; [unrolled: 1-line block ×8, first 2 shown]
	v_cndmask_b32_e32 v8, v8, v11, vcc
	v_cndmask_b32_e64 v9, v9, v13, s[28:29]
	v_cndmask_b32_e64 v10, v10, v14, s[30:31]
	;; [unrolled: 1-line block ×7, first 2 shown]
	global_store_dwordx4 v[26:27], v[8:11], off glc slc
	global_store_dwordx4 v[26:27], v[12:15], off offset:1024 glc slc
	v_add_co_u32_e32 v26, vcc, v26, v29
	v_addc_co_u32_e32 v27, vcc, v27, v55, vcc
	s_andn2_b64 exec, exec, s[70:71]
	s_cbranch_execnz .LBB2_610
; %bb.611:                              ;   in Loop: Header=BB2_496 Depth=2
	s_or_b64 exec, exec, s[70:71]
	v_accvgpr_read_b32 v39, a13
	v_accvgpr_read_b32 v47, a15
	;; [unrolled: 1-line block ×12, first 2 shown]
	v_mov_b32_e32 v41, v25
	v_mov_b32_e32 v26, 1
	v_accvgpr_read_b32 v23, a22
	v_accvgpr_read_b32 v11, a24
.LBB2_612:                              ;   in Loop: Header=BB2_496 Depth=2
	s_or_b64 exec, exec, s[68:69]
	v_lshlrev_b32_e32 v20, 11, v57
	v_cmp_ne_u32_e32 vcc, v11, v20
                                        ; implicit-def: $vgpr13
                                        ; implicit-def: $vgpr14
                                        ; implicit-def: $vgpr12
                                        ; implicit-def: $vgpr4
	s_mov_b64 s[40:41], exec
	s_and_b64 s[28:29], s[40:41], vcc
	v_mov_b32_e32 v57, v3
	s_mov_b64 exec, s[28:29]
	s_cbranch_execz .LBB2_620
; %bb.613:                              ;   in Loop: Header=BB2_496 Depth=2
	v_lshlrev_b32_e32 v4, 6, v53
	v_sub_u32_e32 v4, v41, v4
	v_ashrrev_i32_e32 v8, 31, v4
	v_lshrrev_b32_e32 v8, 26, v8
	v_add_u32_e32 v8, v4, v8
	v_sub_u32_e32 v5, v11, v20
	v_ashrrev_i32_e32 v9, 6, v8
	v_and_b32_e32 v8, 0xffffffc0, v8
	v_sub_u32_e32 v21, v4, v8
	v_ashrrev_i32_e32 v8, 31, v5
	v_lshrrev_b32_e32 v8, 22, v8
	v_add_u32_e32 v8, v5, v8
	v_and_b32_e32 v22, 0xfffffc00, v8
	v_lshlrev_b32_e32 v4, 4, v21
	v_sub_u32_e32 v26, v5, v22
	v_lshl_add_u32 v4, v9, 10, v4
	v_ashrrev_i32_e32 v10, 10, v8
	v_cmp_lt_i32_e32 vcc, 15, v26
	v_sub_u32_e32 v27, v5, v4
	v_addc_co_u32_e64 v5, s[28:29], 0, v10, vcc
	v_mov_b32_e32 v3, v23
	v_sub_u32_e32 v23, v5, v9
	v_cmp_lt_i32_e64 s[28:29], 15, v27
	s_and_saveexec_b64 s[42:43], s[28:29]
	s_cbranch_execz .LBB2_617
; %bb.614:                              ;   in Loop: Header=BB2_496 Depth=2
	v_cvt_f32_u32_e32 v5, s86
	v_add_u32_e32 v14, v4, v20
	s_sub_i32 s28, 0, s86
	v_mov_b32_e32 v25, v11
	v_rcp_iflag_f32_e32 v5, v5
	s_trap 2
	ds_read_b128 v[8:11], v0
	ds_read_b64 v[12:13], v0
	v_ashrrev_i32_e32 v15, 31, v14
	v_mul_f32_e32 v4, 0x4f7ffffe, v5
	v_cvt_u32_f32_e32 v4, v4
	s_mov_b64 s[44:45], 0
	v_readfirstlane_b32 s29, v4
	s_mul_i32 s28, s28, s29
	s_mul_hi_u32 s28, s29, s28
	s_add_i32 s29, s29, s28
	s_mul_hi_u32 s28, s29, -1
	s_mul_i32 s29, s28, s86
	s_not_b32 s29, s29
	s_add_i32 s30, s28, 1
	s_sub_i32 s31, s29, s86
	s_cmp_ge_u32 s29, s86
	s_cselect_b32 s28, s30, s28
	s_cselect_b32 s29, s31, s29
	s_add_i32 s30, s28, 1
	s_cmp_ge_u32 s29, s86
	s_cselect_b32 s68, s30, s28
	s_waitcnt lgkmcnt(0)
	v_add_co_u32_e64 v4, s[28:29], v8, v14
	v_addc_co_u32_e64 v5, s[28:29], v9, v15, s[28:29]
	v_add_co_u32_e64 v16, s[28:29], v10, v14
	v_addc_co_u32_e64 v17, s[28:29], v11, v15, s[28:29]
	;; [unrolled: 2-line block ×3, first 2 shown]
.LBB2_615:                              ;   Parent Loop BB2_47 Depth=1
                                        ;     Parent Loop BB2_496 Depth=2
                                        ; =>    This Inner Loop Header: Depth=3
	global_load_dwordx4 v[8:11], v[4:5], off glc slc
	global_load_dwordx4 v[12:15], v[16:17], off glc slc
	v_add_co_u32_e64 v4, s[28:29], v4, v0
	v_addc_co_u32_e64 v5, s[28:29], v5, v60, s[28:29]
	v_add_co_u32_e64 v16, s[28:29], v16, v0
	v_addc_co_u32_e64 v17, s[28:29], v17, v60, s[28:29]
	v_sub_u32_e32 v27, v27, v42
	v_cmp_gt_i32_e64 s[28:29], 16, v27
	s_or_b64 s[44:45], s[28:29], s[44:45]
	v_sub_u32_e32 v23, v23, v54
	s_waitcnt vmcnt(0)
	v_add_u32_e32 v12, v12, v8
	v_add_co_u32_e64 v8, s[28:29], 0, v8
	v_addc_co_u32_e64 v8, s[28:29], v13, v9, s[28:29]
	v_add_u32_e32 v9, v14, v10
	v_add_co_u32_e64 v10, s[28:29], 0, v10
	v_addc_co_u32_e64 v10, s[28:29], v15, v11, s[28:29]
	v_and_b32_e32 v11, v56, v12
	v_sub_u32_e32 v13, 0, v12
	v_cmp_lt_i32_e64 s[28:29], -1, v11
	v_and_b32_e32 v14, v56, v8
	v_cndmask_b32_e64 v11, v13, v12, s[28:29]
	v_sub_u32_e32 v15, 0, v8
	v_and_b32_e32 v38, v56, v9
	v_cmp_lt_i32_e64 s[30:31], -1, v14
	v_mul_hi_u32 v12, v11, s68
	v_cndmask_b32_e64 v8, v15, v8, s[30:31]
	v_cmp_lt_i32_e64 s[34:35], -1, v38
	v_mul_lo_u32 v38, s86, v12
	v_sub_u32_e32 v39, 0, v9
	v_mul_hi_u32 v13, v8, s68
	v_sub_u32_e32 v11, v11, v38
	v_and_b32_e32 v53, v56, v10
	v_cndmask_b32_e64 v9, v39, v9, s[34:35]
	v_mul_lo_u32 v39, s86, v13
	v_cmp_le_u32_e64 s[38:39], s86, v11
	v_sub_u32_e32 v40, 0, v10
	v_cmp_lt_i32_e64 s[36:37], -1, v53
	v_mul_hi_u32 v14, v9, s68
	v_sub_u32_e32 v8, v8, v39
	v_addc_co_u32_e64 v11, s[38:39], 0, v12, s[38:39]
	v_cndmask_b32_e64 v10, v40, v10, s[36:37]
	v_mul_lo_u32 v53, s86, v14
	v_cmp_le_u32_e64 s[38:39], s86, v8
	v_mul_hi_u32 v15, v10, s68
	v_sub_u32_e32 v9, v9, v53
	v_addc_co_u32_e64 v12, s[38:39], 0, v13, s[38:39]
	v_mul_lo_u32 v40, s86, v15
	v_cmp_le_u32_e64 s[38:39], s86, v9
	v_sub_u32_e32 v10, v10, v40
	v_addc_co_u32_e64 v13, s[38:39], 0, v14, s[38:39]
	v_cmp_le_u32_e64 s[38:39], s86, v10
	v_addc_co_u32_e64 v14, s[38:39], 0, v15, s[38:39]
	v_sub_u32_e32 v8, 0, v11
	v_sub_u32_e32 v9, 0, v12
	;; [unrolled: 1-line block ×4, first 2 shown]
	v_cndmask_b32_e64 v8, v8, v11, s[28:29]
	v_cndmask_b32_e64 v9, v9, v12, s[30:31]
	;; [unrolled: 1-line block ×4, first 2 shown]
	global_store_dwordx4 v[18:19], v[8:11], off glc slc
	v_add_co_u32_e64 v18, s[28:29], v18, v0
	v_addc_co_u32_e64 v19, s[28:29], v19, v60, s[28:29]
	s_andn2_b64 exec, exec, s[44:45]
	s_cbranch_execnz .LBB2_615
; %bb.616:                              ;   in Loop: Header=BB2_496 Depth=2
	s_or_b64 exec, exec, s[44:45]
	v_accvgpr_read_b32 v39, a13
	v_accvgpr_read_b32 v18, a20
	;; [unrolled: 1-line block ×5, first 2 shown]
	v_mov_b32_e32 v11, v25
.LBB2_617:                              ;   in Loop: Header=BB2_496 Depth=2
	s_or_b64 exec, exec, s[42:43]
	v_and_b32_e32 v5, 12, v11
	v_cndmask_b32_e32 v11, v26, v5, vcc
	v_cmp_ne_u32_e64 s[28:29], 0, v11
	s_mov_b64 s[30:31], s[66:67]
                                        ; implicit-def: $vgpr13
                                        ; implicit-def: $vgpr14
                                        ; implicit-def: $vgpr4
	s_and_saveexec_b64 s[34:35], s[28:29]
	s_cbranch_execz .LBB2_619
; %bb.618:                              ;   in Loop: Header=BB2_496 Depth=2
	v_sub_u32_e32 v4, v26, v5
	v_cndmask_b32_e32 v4, 0, v4, vcc
	v_cmp_lt_i32_e32 vcc, 0, v23
	v_add3_u32 v13, v22, v20, v4
	v_cndmask_b32_e32 v4, 0, v54, vcc
	v_sub_u32_e32 v4, v4, v23
	v_lshl_add_u32 v5, v4, 6, v21
	v_ashrrev_i32_e32 v4, 31, v5
	v_lshrrev_b32_e32 v4, 26, v4
	v_add_u32_e32 v8, v5, v4
	v_ashrrev_i32_e32 v4, 6, v8
	v_and_b32_e32 v8, 0xffffffc0, v8
	v_sub_u32_e32 v14, v5, v8
	s_or_b64 s[30:31], s[66:67], exec
.LBB2_619:                              ;   in Loop: Header=BB2_496 Depth=2
	s_or_b64 exec, exec, s[34:35]
	s_andn2_b64 s[28:29], s[66:67], exec
	s_and_b64 vcc, s[30:31], exec
	s_or_b64 s[66:67], s[28:29], vcc
	v_mov_b32_e32 v12, v56
	v_accvgpr_read_b32 v27, a23
	v_mov_b32_e32 v26, 1
	v_mov_b32_e32 v23, v3
.LBB2_620:                              ;   in Loop: Header=BB2_496 Depth=2
	s_or_b64 exec, exec, s[40:41]
	v_accvgpr_read_b32 v20, a28
	v_accvgpr_read_b32 v21, a29
	;; [unrolled: 1-line block ×3, first 2 shown]
	s_and_saveexec_b64 s[34:35], s[66:67]
	s_cbranch_execnz .LBB2_623
	s_branch .LBB2_632
.LBB2_621:                              ;   in Loop: Header=BB2_496 Depth=2
	s_mov_b64 s[66:67], 0
                                        ; implicit-def: $sgpr30
                                        ; implicit-def: $vgpr12
                                        ; implicit-def: $sgpr86
	s_andn2_b64 vcc, exec, s[28:29]
	s_cbranch_vccz .LBB2_608
.LBB2_622:                              ;   in Loop: Header=BB2_496 Depth=2
	v_mov_b32_e32 v13, s30
	v_mov_b32_e32 v14, v41
	;; [unrolled: 1-line block ×3, first 2 shown]
	s_and_saveexec_b64 s[34:35], s[66:67]
	s_cbranch_execz .LBB2_632
.LBB2_623:                              ;   in Loop: Header=BB2_496 Depth=2
	v_ashrrev_i32_e32 v8, 31, v11
	v_add_u32_sdwa v8, v11, v8 dst_sel:DWORD dst_unused:UNUSED_PAD src0_sel:DWORD src1_sel:BYTE_3
	v_and_b32_e32 v15, 0xffffff00, v8
	v_lshlrev_b32_e32 v5, 2, v14
	v_ashrrev_i32_e32 v9, 8, v8
	v_sub_u32_e32 v16, v11, v15
	v_lshl_add_u32 v5, v4, 8, v5
	v_sub_u32_e32 v4, v9, v4
	v_cmp_lt_i32_e32 vcc, 3, v16
	v_sub_u32_e32 v18, v11, v5
	v_addc_co_u32_e64 v17, s[28:29], 0, v4, vcc
	v_cmp_lt_i32_e64 s[28:29], 3, v18
	s_and_saveexec_b64 s[36:37], s[28:29]
	s_cbranch_execz .LBB2_627
; %bb.624:                              ;   in Loop: Header=BB2_496 Depth=2
	v_cvt_f32_u32_e32 v4, s86
	s_sub_i32 s28, 0, s86
	v_mov_b32_e32 v3, v11
	s_trap 2
	v_rcp_iflag_f32_e32 v4, v4
	ds_read_b128 v[8:11], v0
	ds_read_b64 v[20:21], v0
	v_add_u32_e32 v19, v5, v13
	v_ashrrev_i32_e32 v22, 31, v19
	v_mul_f32_e32 v4, 0x4f7ffffe, v4
	v_cvt_u32_f32_e32 v4, v4
	s_mov_b64 s[38:39], 0
	v_readfirstlane_b32 s29, v4
	s_mul_i32 s28, s28, s29
	s_mul_hi_u32 s28, s29, s28
	s_add_i32 s29, s29, s28
	s_mul_hi_u32 s28, s29, -1
	s_mul_i32 s29, s28, s86
	s_not_b32 s29, s29
	s_add_i32 s30, s28, 1
	s_sub_i32 s31, s29, s86
	s_cmp_ge_u32 s29, s86
	s_cselect_b32 s28, s30, s28
	s_cselect_b32 s29, s31, s29
	s_add_i32 s30, s28, 1
	s_cmp_ge_u32 s29, s86
	s_cselect_b32 s40, s30, s28
	s_waitcnt lgkmcnt(0)
	v_add_co_u32_e64 v4, s[28:29], v8, v19
	v_addc_co_u32_e64 v5, s[28:29], v9, v22, s[28:29]
	v_add_co_u32_e64 v8, s[28:29], v10, v19
	v_addc_co_u32_e64 v9, s[28:29], v11, v22, s[28:29]
	;; [unrolled: 2-line block ×3, first 2 shown]
.LBB2_625:                              ;   Parent Loop BB2_47 Depth=1
                                        ;     Parent Loop BB2_496 Depth=2
                                        ; =>    This Inner Loop Header: Depth=3
	flat_load_dword v19, v[4:5] glc slc
	flat_load_dword v20, v[8:9] glc slc
	v_add_co_u32_e64 v4, s[28:29], v4, v61
	v_addc_co_u32_e64 v5, s[28:29], v5, v28, s[28:29]
	v_add_co_u32_e64 v8, s[28:29], v8, v61
	v_addc_co_u32_e64 v9, s[28:29], v9, v28, s[28:29]
	v_sub_u32_e32 v18, v18, v43
	v_cmp_gt_i32_e64 s[28:29], 4, v18
	s_or_b64 s[38:39], s[28:29], s[38:39]
	v_sub_u32_e32 v17, v17, v54
	s_waitcnt vmcnt(0) lgkmcnt(0)
	v_add_u32_e32 v19, v20, v19
	v_and_b32_e32 v20, v19, v12
	v_sub_u32_e32 v21, 0, v19
	v_cmp_lt_i32_e64 s[28:29], -1, v20
	v_cndmask_b32_e64 v19, v21, v19, s[28:29]
	v_mul_hi_u32 v20, v19, s40
	v_mul_lo_u32 v21, s86, v20
	v_sub_u32_e32 v19, v19, v21
	v_cmp_le_u32_e64 s[30:31], s86, v19
	v_addc_co_u32_e64 v19, s[30:31], 0, v20, s[30:31]
	v_sub_u32_e32 v20, 0, v19
	v_cndmask_b32_e64 v19, v20, v19, s[28:29]
	flat_store_dword v[10:11], v19 glc slc
	v_add_co_u32_e64 v10, s[28:29], v10, v61
	v_addc_co_u32_e64 v11, s[28:29], v11, v28, s[28:29]
	s_andn2_b64 exec, exec, s[38:39]
	s_cbranch_execnz .LBB2_625
; %bb.626:                              ;   in Loop: Header=BB2_496 Depth=2
	s_or_b64 exec, exec, s[38:39]
	v_accvgpr_read_b32 v20, a28
	v_accvgpr_read_b32 v21, a29
	v_mov_b32_e32 v11, v3
.LBB2_627:                              ;   in Loop: Header=BB2_496 Depth=2
	s_or_b64 exec, exec, s[36:37]
	v_and_b32_e32 v5, 3, v11
	v_cndmask_b32_e32 v8, v16, v5, vcc
	v_cmp_ne_u32_e64 s[28:29], 0, v8
	s_mov_b64 s[30:31], exec
	v_accvgpr_read_b32 v18, a20
	s_and_b64 s[28:29], s[30:31], s[28:29]
	v_accvgpr_read_b32 v19, a21
	s_mov_b64 exec, s[28:29]
	s_cbranch_execz .LBB2_631
; %bb.628:                              ;   in Loop: Header=BB2_496 Depth=2
	v_cmp_lt_i32_e64 s[28:29], 0, v17
	v_cndmask_b32_e64 v4, 0, v54, s[28:29]
	v_sub_u32_e32 v4, v4, v17
	v_lshl_add_u32 v4, v4, 6, v14
	v_ashrrev_i32_e32 v9, 31, v4
	v_lshrrev_b32_e32 v9, 26, v9
	v_add_u32_e32 v9, v4, v9
	v_and_b32_e32 v10, 0x3fffffc0, v9
	v_lshlrev_b32_e32 v9, 2, v9
	v_sub_u32_e32 v4, v4, v10
	v_and_b32_e32 v9, 0xffffff00, v9
	v_lshl_add_u32 v4, v4, 2, v9
	v_sub_u32_e32 v14, v8, v4
	v_cmp_lt_i32_e64 s[28:29], 3, v14
	s_and_b64 exec, exec, s[28:29]
	s_cbranch_execz .LBB2_631
; %bb.629:                              ;   in Loop: Header=BB2_496 Depth=2
	v_cvt_f32_u32_e32 v8, s86
	s_sub_i32 s28, 0, s86
	v_sub_u32_e32 v5, v16, v5
	v_add_u32_e32 v9, v15, v13
	v_rcp_iflag_f32_e32 v8, v8
	v_cndmask_b32_e32 v5, 0, v5, vcc
	s_trap 2
	v_add3_u32 v13, v9, v5, v4
	v_mul_f32_e32 v8, 0x4f7ffffe, v8
	v_cvt_u32_f32_e32 v8, v8
	v_ashrrev_i32_e32 v15, 31, v13
	s_mov_b64 s[36:37], 0
	ds_read_b64 v[16:17], v0
	v_readfirstlane_b32 s29, v8
	s_mul_i32 s28, s28, s29
	s_mul_hi_u32 s28, s29, s28
	s_add_i32 s29, s29, s28
	s_mul_hi_u32 s28, s29, -1
	s_mul_i32 s29, s28, s86
	s_not_b32 s29, s29
	s_add_i32 vcc_lo, s28, 1
	s_sub_i32 vcc_hi, s29, s86
	ds_read_b128 v[8:11], v0
	s_cmp_ge_u32 s29, s86
	s_cselect_b32 s28, vcc_lo, s28
	s_cselect_b32 s29, vcc_hi, s29
	s_add_i32 vcc_lo, s28, 1
	s_cmp_ge_u32 s29, s86
	s_cselect_b32 s38, vcc_lo, s28
	s_waitcnt lgkmcnt(0)
	v_add_co_u32_e32 v4, vcc, v8, v13
	v_addc_co_u32_e32 v5, vcc, v9, v15, vcc
	v_add_co_u32_e32 v8, vcc, v10, v13
	v_addc_co_u32_e32 v9, vcc, v11, v15, vcc
	;; [unrolled: 2-line block ×3, first 2 shown]
.LBB2_630:                              ;   Parent Loop BB2_47 Depth=1
                                        ;     Parent Loop BB2_496 Depth=2
                                        ; =>    This Inner Loop Header: Depth=3
	flat_load_dword v13, v[4:5] glc slc
	flat_load_dword v15, v[8:9] glc slc
	v_add_co_u32_e32 v4, vcc, v4, v61
	v_addc_co_u32_e32 v5, vcc, v5, v28, vcc
	v_add_co_u32_e32 v8, vcc, v8, v61
	v_addc_co_u32_e32 v9, vcc, v9, v28, vcc
	v_sub_u32_e32 v14, v14, v43
	v_cmp_gt_i32_e32 vcc, 4, v14
	s_or_b64 s[36:37], vcc, s[36:37]
	s_waitcnt vmcnt(0) lgkmcnt(0)
	v_add_u32_e32 v13, v15, v13
	v_and_b32_e32 v15, v13, v12
	v_sub_u32_e32 v16, 0, v13
	v_cmp_lt_i32_e32 vcc, -1, v15
	v_cndmask_b32_e32 v13, v16, v13, vcc
	v_mul_hi_u32 v15, v13, s38
	v_mul_lo_u32 v16, s86, v15
	v_sub_u32_e32 v13, v13, v16
	v_cmp_le_u32_e64 s[28:29], s86, v13
	v_addc_co_u32_e64 v13, s[28:29], 0, v15, s[28:29]
	v_sub_u32_e32 v15, 0, v13
	v_cndmask_b32_e32 v13, v15, v13, vcc
	flat_store_dword v[10:11], v13 glc slc
	v_add_co_u32_e32 v10, vcc, v10, v61
	v_addc_co_u32_e32 v11, vcc, v11, v28, vcc
	s_andn2_b64 exec, exec, s[36:37]
	s_cbranch_execnz .LBB2_630
.LBB2_631:                              ;   in Loop: Header=BB2_496 Depth=2
	s_or_b64 exec, exec, s[30:31]
.LBB2_632:                              ;   in Loop: Header=BB2_496 Depth=2
	s_or_b64 exec, exec, s[34:35]
.LBB2_633:                              ;   in Loop: Header=BB2_496 Depth=2
	s_and_saveexec_b64 s[28:29], s[10:11]
	s_cbranch_execz .LBB2_652
; %bb.634:                              ;   in Loop: Header=BB2_496 Depth=2
	s_and_saveexec_b64 vcc, s[52:53]
	s_xor_b64 s[30:31], exec, vcc
	s_cbranch_execz .LBB2_649
; %bb.635:                              ;   in Loop: Header=BB2_496 Depth=2
	s_and_saveexec_b64 s[34:35], s[16:17]
	s_cbranch_execz .LBB2_648
; %bb.636:                              ;   in Loop: Header=BB2_496 Depth=2
	s_mov_b64 s[38:39], exec
	v_mbcnt_lo_u32_b32 v3, s38, 0
	v_mbcnt_hi_u32_b32 v3, s39, v3
	v_cmp_eq_u32_e32 vcc, 0, v3
	s_waitcnt vmcnt(0) lgkmcnt(0)
	buffer_wbinvl1_vol
	s_and_saveexec_b64 s[36:37], vcc
	s_cbranch_execz .LBB2_638
; %bb.637:                              ;   in Loop: Header=BB2_496 Depth=2
	s_bcnt1_i32_b64 vcc_lo, s[38:39]
	v_mov_b32_e32 v4, vcc_lo
	v_mov_b32_e32 v5, v52
	ds_add_u64 v0, v[4:5]
	s_trap 2
.LBB2_638:                              ;   in Loop: Header=BB2_496 Depth=2
	s_or_b64 exec, exec, s[36:37]
	s_trap 2
	ds_read_b64 v[4:5], v0
	v_add_co_u32_e32 v48, vcc, v48, v54
	v_addc_co_u32_e32 v49, vcc, 0, v49, vcc
	s_waitcnt lgkmcnt(0)
	v_cmp_lt_u64_e32 vcc, v[4:5], v[48:49]
	s_and_saveexec_b64 s[36:37], vcc
	s_cbranch_execz .LBB2_647
; %bb.639:                              ;   in Loop: Header=BB2_496 Depth=2
	s_mov_b32 s68, 0
	s_mov_b64 s[38:39], 0
                                        ; implicit-def: $sgpr40_sgpr41
                                        ; implicit-def: $sgpr42_sgpr43
	s_branch .LBB2_641
.LBB2_640:                              ;   in Loop: Header=BB2_641 Depth=3
	s_or_b64 exec, exec, s[66:67]
	s_and_b64 vcc, exec, vcc
	s_or_b64 s[38:39], vcc, s[38:39]
	s_andn2_b64 vcc, s[40:41], exec
	s_and_b64 s[40:41], s[42:43], exec
	s_or_b64 s[40:41], vcc, s[40:41]
	s_andn2_b64 exec, exec, s[38:39]
	s_cbranch_execz .LBB2_645
.LBB2_641:                              ;   Parent Loop BB2_47 Depth=1
                                        ;     Parent Loop BB2_496 Depth=2
                                        ; =>    This Inner Loop Header: Depth=3
	s_add_i32 s68, s68, 1
	s_cmpk_lg_i32 s68, 0x2710
	s_cselect_b64 s[44:45], -1, 0
	s_and_b64 vcc, exec, s[44:45]
                                        ; implicit-def: $sgpr66_sgpr67
	s_cbranch_vccnz .LBB2_643
; %bb.642:                              ;   in Loop: Header=BB2_641 Depth=3
	s_trap 2
	ds_read_b64 v[4:5], v0
	s_andn2_b64 s[44:45], s[44:45], exec
	s_mov_b32 s68, 0
	s_mov_b64 s[66:67], -1
	s_waitcnt lgkmcnt(0)
	flat_load_dword v3, v[4:5] glc
	s_waitcnt vmcnt(0) lgkmcnt(0)
	buffer_invl2
	buffer_wbinvl1_vol
	v_cmp_eq_u32_e32 vcc, 0, v3
	s_and_b64 vcc, vcc, exec
	s_or_b64 s[44:45], s[44:45], vcc
.LBB2_643:                              ;   in Loop: Header=BB2_641 Depth=3
	s_andn2_b64 s[42:43], s[42:43], exec
	s_and_b64 s[66:67], s[66:67], exec
	s_mov_b64 vcc, -1
	s_or_b64 s[42:43], s[42:43], s[66:67]
	s_and_saveexec_b64 s[66:67], s[44:45]
	s_cbranch_execz .LBB2_640
; %bb.644:                              ;   in Loop: Header=BB2_641 Depth=3
	s_sleep 1
	s_trap 2
	ds_read_b64 v[4:5], v0
	s_andn2_b64 s[42:43], s[42:43], exec
	s_waitcnt lgkmcnt(0)
	v_cmp_ge_u64_e32 vcc, v[4:5], v[48:49]
	s_orn2_b64 vcc, vcc, exec
	s_branch .LBB2_640
.LBB2_645:                              ;   in Loop: Header=BB2_496 Depth=2
	s_or_b64 exec, exec, s[38:39]
	s_and_saveexec_b64 vcc, s[40:41]
	s_xor_b64 vcc, exec, vcc
	s_cbranch_execz .LBB2_647
; %bb.646:                              ;   in Loop: Header=BB2_496 Depth=2
	ds_write_b32 v0, v26
	s_trap 2
.LBB2_647:                              ;   in Loop: Header=BB2_496 Depth=2
	s_or_b64 exec, exec, s[36:37]
	;;#ASMSTART
	s_wakeup
	;;#ASMEND
.LBB2_648:                              ;   in Loop: Header=BB2_496 Depth=2
	s_or_b64 exec, exec, s[34:35]
.LBB2_649:                              ;   in Loop: Header=BB2_496 Depth=2
	s_andn2_saveexec_b64 vcc, s[30:31]
	s_cbranch_execz .LBB2_651
; %bb.650:                              ;   in Loop: Header=BB2_496 Depth=2
	s_waitcnt vmcnt(0) lgkmcnt(0)
	buffer_wbinvl1_vol
	s_barrier
.LBB2_651:                              ;   in Loop: Header=BB2_496 Depth=2
	s_or_b64 exec, exec, vcc
.LBB2_652:                              ;   in Loop: Header=BB2_496 Depth=2
	s_or_b64 exec, exec, s[28:29]
                                        ; implicit-def: $vgpr4
	s_and_saveexec_b64 s[28:29], s[24:25]
	s_xor_b64 s[30:31], exec, s[28:29]
	s_cbranch_execz .LBB2_656
; %bb.653:                              ;   in Loop: Header=BB2_496 Depth=2
	v_and_b32_e32 v3, 16, v62
	v_cmp_lt_i32_e32 vcc, 0, v23
	v_cmp_ne_u32_e64 s[28:29], 0, v3
	v_and_b32_e32 v4, 16, v62
	s_and_b64 vcc, s[28:29], vcc
	s_and_saveexec_b64 s[28:29], vcc
	s_cbranch_execz .LBB2_655
; %bb.654:                              ;   in Loop: Header=BB2_496 Depth=2
	v_mov_b32_e32 v4, 1
	s_waitcnt vmcnt(0) lgkmcnt(0)
	buffer_wbinvl1_vol
.LBB2_655:                              ;   in Loop: Header=BB2_496 Depth=2
	s_or_b64 exec, exec, s[28:29]
	s_andn2_saveexec_b64 s[28:29], s[30:31]
	s_cbranch_execz .LBB2_675
	s_branch .LBB2_657
.LBB2_656:                              ;   in Loop: Header=BB2_496 Depth=2
	s_andn2_saveexec_b64 s[28:29], s[30:31]
	s_cbranch_execz .LBB2_675
.LBB2_657:                              ;   in Loop: Header=BB2_496 Depth=2
	s_and_saveexec_b64 vcc, s[52:53]
	s_xor_b64 s[30:31], exec, vcc
	s_cbranch_execz .LBB2_672
; %bb.658:                              ;   in Loop: Header=BB2_496 Depth=2
	s_and_saveexec_b64 s[34:35], s[16:17]
	s_cbranch_execz .LBB2_671
; %bb.659:                              ;   in Loop: Header=BB2_496 Depth=2
	s_mov_b64 s[38:39], exec
	v_mbcnt_lo_u32_b32 v3, s38, 0
	v_mbcnt_hi_u32_b32 v3, s39, v3
	v_cmp_eq_u32_e32 vcc, 0, v3
	;;#ASMSTART
	s_waitcnt lgkmcnt(0) vmcnt(0)
	;;#ASMEND
	s_and_saveexec_b64 s[36:37], vcc
	s_cbranch_execz .LBB2_661
; %bb.660:                              ;   in Loop: Header=BB2_496 Depth=2
	s_bcnt1_i32_b64 vcc_lo, s[38:39]
	v_mov_b32_e32 v4, vcc_lo
	v_mov_b32_e32 v5, v52
	ds_add_u64 v0, v[4:5]
	s_trap 2
.LBB2_661:                              ;   in Loop: Header=BB2_496 Depth=2
	s_or_b64 exec, exec, s[36:37]
	s_trap 2
	ds_read_b64 v[4:5], v0
	v_add_co_u32_e32 v48, vcc, v48, v54
	v_addc_co_u32_e32 v49, vcc, 0, v49, vcc
	s_waitcnt lgkmcnt(0)
	v_cmp_lt_u64_e32 vcc, v[4:5], v[48:49]
	s_and_saveexec_b64 s[36:37], vcc
	s_cbranch_execz .LBB2_670
; %bb.662:                              ;   in Loop: Header=BB2_496 Depth=2
	s_mov_b32 s68, 0
	s_mov_b64 s[38:39], 0
                                        ; implicit-def: $sgpr40_sgpr41
                                        ; implicit-def: $sgpr42_sgpr43
	s_branch .LBB2_664
.LBB2_663:                              ;   in Loop: Header=BB2_664 Depth=3
	s_or_b64 exec, exec, s[66:67]
	s_and_b64 vcc, exec, vcc
	s_or_b64 s[38:39], vcc, s[38:39]
	s_andn2_b64 vcc, s[40:41], exec
	s_and_b64 s[40:41], s[42:43], exec
	s_or_b64 s[40:41], vcc, s[40:41]
	s_andn2_b64 exec, exec, s[38:39]
	s_cbranch_execz .LBB2_668
.LBB2_664:                              ;   Parent Loop BB2_47 Depth=1
                                        ;     Parent Loop BB2_496 Depth=2
                                        ; =>    This Inner Loop Header: Depth=3
	s_add_i32 s68, s68, 1
	s_cmpk_lg_i32 s68, 0x2710
	s_cselect_b64 s[44:45], -1, 0
	s_and_b64 vcc, exec, s[44:45]
                                        ; implicit-def: $sgpr66_sgpr67
	s_cbranch_vccnz .LBB2_666
; %bb.665:                              ;   in Loop: Header=BB2_664 Depth=3
	s_trap 2
	ds_read_b64 v[4:5], v0
	s_andn2_b64 s[44:45], s[44:45], exec
	s_mov_b32 s68, 0
	s_mov_b64 s[66:67], -1
	s_waitcnt vmcnt(0) lgkmcnt(0)
	flat_load_dword v3, v[4:5] glc
	s_waitcnt vmcnt(0) lgkmcnt(0)
	buffer_invl2
	buffer_wbinvl1_vol
	v_cmp_eq_u32_e32 vcc, 0, v3
	s_and_b64 vcc, vcc, exec
	s_or_b64 s[44:45], s[44:45], vcc
.LBB2_666:                              ;   in Loop: Header=BB2_664 Depth=3
	s_andn2_b64 s[42:43], s[42:43], exec
	s_and_b64 s[66:67], s[66:67], exec
	s_mov_b64 vcc, -1
	s_or_b64 s[42:43], s[42:43], s[66:67]
	s_and_saveexec_b64 s[66:67], s[44:45]
	s_cbranch_execz .LBB2_663
; %bb.667:                              ;   in Loop: Header=BB2_664 Depth=3
	s_sleep 1
	s_trap 2
	ds_read_b64 v[4:5], v0
	s_andn2_b64 s[42:43], s[42:43], exec
	s_waitcnt lgkmcnt(0)
	v_cmp_ge_u64_e32 vcc, v[4:5], v[48:49]
	s_orn2_b64 vcc, vcc, exec
	s_branch .LBB2_663
.LBB2_668:                              ;   in Loop: Header=BB2_496 Depth=2
	s_or_b64 exec, exec, s[38:39]
	s_and_saveexec_b64 vcc, s[40:41]
	s_xor_b64 vcc, exec, vcc
	s_cbranch_execz .LBB2_670
; %bb.669:                              ;   in Loop: Header=BB2_496 Depth=2
	ds_write_b32 v0, v26
	s_trap 2
.LBB2_670:                              ;   in Loop: Header=BB2_496 Depth=2
	s_or_b64 exec, exec, s[36:37]
	;;#ASMSTART
	s_wakeup
	;;#ASMEND
.LBB2_671:                              ;   in Loop: Header=BB2_496 Depth=2
	s_or_b64 exec, exec, s[34:35]
.LBB2_672:                              ;   in Loop: Header=BB2_496 Depth=2
	s_andn2_saveexec_b64 vcc, s[30:31]
	s_cbranch_execz .LBB2_674
; %bb.673:                              ;   in Loop: Header=BB2_496 Depth=2
	;;#ASMSTART
	s_waitcnt lgkmcnt(0) vmcnt(0)
	;;#ASMEND
	s_barrier
.LBB2_674:                              ;   in Loop: Header=BB2_496 Depth=2
	s_or_b64 exec, exec, vcc
	v_and_b32_e32 v4, 16, v62
.LBB2_675:                              ;   in Loop: Header=BB2_496 Depth=2
	s_or_b64 exec, exec, s[28:29]
	v_cmp_ne_u32_e32 vcc, 0, v4
	s_xor_b64 s[28:29], s[12:13], -1
	s_and_b64 vcc, vcc, s[28:29]
	s_and_saveexec_b64 s[28:29], vcc
	s_cbranch_execz .LBB2_677
; %bb.676:                              ;   in Loop: Header=BB2_496 Depth=2
	flat_store_dword v[46:47], v26
.LBB2_677:                              ;   in Loop: Header=BB2_496 Depth=2
	s_or_b64 exec, exec, s[28:29]
	v_and_b32_e32 v3, 48, v62
	v_cmp_ne_u32_e32 vcc, 0, v3
	s_and_saveexec_b64 s[28:29], vcc
	s_cbranch_execz .LBB2_495
; %bb.678:                              ;   in Loop: Header=BB2_496 Depth=2
	v_add_co_u32_e32 v32, vcc, 2, v32
	v_addc_co_u32_e32 v33, vcc, 0, v33, vcc
	flat_store_dwordx2 v[34:35], v[32:33]
	s_branch .LBB2_495
.LBB2_679:                              ;   in Loop: Header=BB2_47 Depth=1
	s_or_b64 exec, exec, s[60:61]
	v_cmp_gt_i32_e32 vcc, 2, v3
	s_and_saveexec_b64 s[30:31], vcc
	s_cbranch_execz .LBB2_755
.LBB2_680:                              ;   in Loop: Header=BB2_47 Depth=1
	v_cmp_eq_u32_e64 s[28:29], 0, v3
	s_mov_b64 s[34:35], 0
	s_branch .LBB2_682
.LBB2_681:                              ;   in Loop: Header=BB2_682 Depth=2
	s_or_b64 exec, exec, s[28:29]
	v_add_u32_e32 v24, v2, v24
	s_mov_b64 s[28:29], 0
	s_andn2_b64 exec, exec, s[34:35]
	s_cbranch_execz .LBB2_756
.LBB2_682:                              ;   Parent Loop BB2_47 Depth=1
                                        ; =>  This Loop Header: Depth=2
                                        ;       Child Loop BB2_688 Depth 3
                                        ;       Child Loop BB2_720 Depth 3
	;; [unrolled: 1-line block ×3, first 2 shown]
	v_and_b32_e32 v3, 12, v62
	s_mov_b64 s[38:39], -1
	v_cmp_ne_u32_e32 vcc, 0, v3
	s_and_saveexec_b64 s[36:37], vcc
	s_cbranch_execz .LBB2_694
; %bb.683:                              ;   in Loop: Header=BB2_682 Depth=2
	v_and_b32_e32 v4, 8, v62
	v_add_co_u32_e32 v10, vcc, v50, v4
	v_addc_co_u32_e32 v11, vcc, 0, v51, vcc
	v_add_co_u32_e32 v8, vcc, 2, v32
	v_addc_co_u32_e32 v9, vcc, 0, v33, vcc
	v_cmp_lt_u64_e32 vcc, v[10:11], v[8:9]
	v_mov_b32_e32 v3, 1
	s_and_saveexec_b64 s[38:39], vcc
	s_cbranch_execz .LBB2_693
; %bb.684:                              ;   in Loop: Header=BB2_682 Depth=2
	s_mov_b64 s[40:41], 0
	v_mov_b32_e32 v3, 0
                                        ; implicit-def: $sgpr42_sgpr43
	s_branch .LBB2_688
.LBB2_685:                              ;   in Loop: Header=BB2_688 Depth=3
	s_or_b64 exec, exec, s[64:65]
	v_mov_b32_e32 v5, 0
	s_orn2_b64 s[62:63], s[62:63], exec
.LBB2_686:                              ;   in Loop: Header=BB2_688 Depth=3
	s_or_b64 exec, exec, s[60:61]
	s_andn2_b64 vcc, s[42:43], exec
	s_and_b64 s[42:43], s[62:63], exec
	s_or_b64 s[42:43], vcc, s[42:43]
	v_mov_b32_e32 v3, v5
.LBB2_687:                              ;   in Loop: Header=BB2_688 Depth=3
	s_or_b64 exec, exec, s[44:45]
	s_waitcnt vmcnt(0) lgkmcnt(0)
	v_add_co_u32_e32 v10, vcc, v50, v4
	v_addc_co_u32_e32 v11, vcc, 0, v51, vcc
	v_cmp_ge_u64_e32 vcc, v[10:11], v[8:9]
	s_xor_b64 s[44:45], s[42:43], -1
	s_or_b64 vcc, s[44:45], vcc
	s_and_b64 vcc, exec, vcc
	s_or_b64 s[40:41], vcc, s[40:41]
	s_andn2_b64 exec, exec, s[40:41]
	s_cbranch_execz .LBB2_692
.LBB2_688:                              ;   Parent Loop BB2_47 Depth=1
                                        ;     Parent Loop BB2_682 Depth=2
                                        ; =>    This Inner Loop Header: Depth=3
	s_sleep 1
	flat_load_dwordx2 v[50:51], v[34:35] glc
	v_and_b32_e32 v5, 64, v62
	v_cmp_eq_u32_e32 vcc, 0, v5
	s_andn2_b64 s[42:43], s[42:43], exec
	s_and_saveexec_b64 s[44:45], vcc
	s_cbranch_execz .LBB2_687
; %bb.689:                              ;   in Loop: Header=BB2_688 Depth=3
	v_add_u32_e32 v5, 1, v3
	v_cmp_lt_i32_e32 vcc, s83, v3
	s_mov_b64 s[62:63], -1
	s_and_saveexec_b64 s[60:61], vcc
	s_cbranch_execz .LBB2_686
; %bb.690:                              ;   in Loop: Header=BB2_688 Depth=3
	s_trap 2
	ds_read_b64 v[10:11], v0
	s_waitcnt vmcnt(0) lgkmcnt(0)
	flat_load_dword v3, v[10:11] glc
	s_waitcnt vmcnt(0) lgkmcnt(0)
	buffer_invl2
	buffer_wbinvl1_vol
	v_cmp_ne_u32_e32 vcc, 0, v3
	s_and_saveexec_b64 s[64:65], vcc
	s_cbranch_execz .LBB2_685
; %bb.691:                              ;   in Loop: Header=BB2_688 Depth=3
	v_or_b32_e32 v62, 64, v62
	s_xor_b64 s[62:63], exec, -1
	ds_write_b32 v0, v3
	s_trap 2
	s_branch .LBB2_685
.LBB2_692:                              ;   in Loop: Header=BB2_682 Depth=2
	s_or_b64 exec, exec, s[40:41]
	v_and_b32_e32 v3, 12, v62
.LBB2_693:                              ;   in Loop: Header=BB2_682 Depth=2
	s_or_b64 exec, exec, s[38:39]
	v_cmp_eq_u32_e32 vcc, 0, v3
	s_orn2_b64 s[38:39], vcc, exec
	;;#ASMSTART
	s_wakeup
	;;#ASMEND
.LBB2_694:                              ;   in Loop: Header=BB2_682 Depth=2
	s_or_b64 exec, exec, s[36:37]
	s_xor_b64 s[28:29], s[28:29], -1
	s_and_b64 s[28:29], exec, s[28:29]
	s_or_b64 s[34:35], s[28:29], s[34:35]
	v_sub_u32_e32 v3, v53, v24
	s_xor_b64 s[28:29], s[38:39], -1
	v_min_i32_e32 v2, v2, v3
	s_and_saveexec_b64 s[36:37], s[28:29]
	s_cbranch_execz .LBB2_712
; %bb.695:                              ;   in Loop: Header=BB2_682 Depth=2
	v_and_b32_e32 v3, 0x108, v62
	v_cmp_ne_u32_e32 vcc, s84, v3
	v_and_b32_e32 v4, 7, v32
	s_and_saveexec_b64 s[28:29], vcc
	s_xor_b64 s[28:29], exec, s[28:29]
                                        ; implicit-def: $vgpr8_vgpr9
; %bb.696:                              ;   in Loop: Header=BB2_682 Depth=2
	v_mov_b32_e32 v9, v52
; %bb.697:                              ;   in Loop: Header=BB2_682 Depth=2
	s_andn2_saveexec_b64 s[28:29], s[28:29]
	s_cbranch_execz .LBB2_699
; %bb.698:                              ;   in Loop: Header=BB2_682 Depth=2
	v_ashrrev_i32_e32 v3, 31, v2
	v_mov_b32_e32 v9, v52
	v_mad_u64_u32 v[10:11], vcc, v4, 24, v[38:39]
	v_lshlrev_b64 v[12:13], 2, v[2:3]
	flat_store_dwordx2 v[10:11], v[12:13] offset:8
.LBB2_699:                              ;   in Loop: Header=BB2_682 Depth=2
	s_or_b64 exec, exec, s[28:29]
	v_and_b32_e32 v3, 0x100, v62
	v_cmp_ne_u32_e32 vcc, 0, v3
	s_mov_b64 s[28:29], -1
                                        ; implicit-def: $vgpr10_vgpr11
	s_and_saveexec_b64 s[38:39], vcc
	s_cbranch_execz .LBB2_703
; %bb.700:                              ;   in Loop: Header=BB2_682 Depth=2
	v_mad_u64_u32 v[12:13], s[28:29], v4, 24, v[38:39]
	v_mov_b32_e32 v8, v13
	v_mad_u64_u32 v[10:11], s[28:29], v9, 24, v[8:9]
	v_mov_b32_e32 v13, v10
	flat_load_dword v3, v[12:13]
                                        ; implicit-def: $vgpr10_vgpr11
	s_waitcnt vmcnt(0) lgkmcnt(0)
	v_cmp_ne_u32_e32 vcc, 1, v3
	v_cmp_eq_u32_e64 s[28:29], 1, v3
	s_and_saveexec_b64 s[40:41], s[28:29]
	s_cbranch_execz .LBB2_702
; %bb.701:                              ;   in Loop: Header=BB2_682 Depth=2
	flat_load_dword v10, v[12:13] offset:4 glc
	s_waitcnt vmcnt(0) lgkmcnt(0)
	v_ashrrev_i32_e32 v11, 31, v10
	v_lshrrev_b64 v[10:11], 2, v[10:11]
.LBB2_702:                              ;   in Loop: Header=BB2_682 Depth=2
	s_or_b64 exec, exec, s[40:41]
	s_orn2_b64 s[28:29], vcc, exec
.LBB2_703:                              ;   in Loop: Header=BB2_682 Depth=2
	s_or_b64 exec, exec, s[38:39]
	s_and_saveexec_b64 vcc, s[28:29]
; %bb.704:                              ;   in Loop: Header=BB2_682 Depth=2
	v_mul_lo_u32 v3, v9, v30
	v_mul_lo_u32 v5, v4, v45
	v_mad_u64_u32 v[10:11], s[28:29], v4, v30, 0
	v_add3_u32 v11, v11, v5, v3
; %bb.705:                              ;   in Loop: Header=BB2_682 Depth=2
	s_or_b64 exec, exec, vcc
	v_lshlrev_b64 v[4:5], 2, v[10:11]
	v_add_co_u32_e32 v4, vcc, v36, v4
	v_addc_co_u32_e32 v5, vcc, v37, v5, vcc
	v_and_b32_e32 v3, 0x2000, v62
	v_cmp_ne_u32_e32 vcc, 0, v3
	s_trap 2
	ds_write_b64 v0, v[4:5]
	s_and_saveexec_b64 s[28:29], vcc
	s_cbranch_execz .LBB2_707
; %bb.706:                              ;   in Loop: Header=BB2_682 Depth=2
	ds_read_b64 v[4:5], v0 offset:584
	s_waitcnt lgkmcnt(0)
	v_add_co_u32_e32 v4, vcc, 1, v4
	v_addc_co_u32_e32 v5, vcc, 0, v5, vcc
	ds_write_b64 v0, v[4:5] offset:584
.LBB2_707:                              ;   in Loop: Header=BB2_682 Depth=2
	s_or_b64 exec, exec, s[28:29]
	v_add_co_u32_e32 v32, vcc, 2, v32
	v_addc_co_u32_e32 v33, vcc, 0, v33, vcc
	s_or_b64 exec, exec, s[36:37]
	s_and_saveexec_b64 s[28:29], s[10:11]
	s_cbranch_execnz .LBB2_713
.LBB2_708:                              ;   in Loop: Header=BB2_682 Depth=2
	s_or_b64 exec, exec, s[28:29]
                                        ; implicit-def: $vgpr3
	s_and_saveexec_b64 s[28:29], s[24:25]
	s_xor_b64 s[28:29], exec, s[28:29]
	s_cbranch_execz .LBB2_731
.LBB2_709:                              ;   in Loop: Header=BB2_682 Depth=2
	s_trap 2
	ds_read_b32 v4, v0
	v_cmp_lt_i32_e32 vcc, 0, v2
	v_and_b32_e32 v5, 16, v62
	v_and_b32_e32 v3, 16, v62
	s_waitcnt lgkmcnt(0)
	v_readfirstlane_b32 s36, v4
	s_cmp_eq_u32 s36, 0
	s_cselect_b64 s[36:37], -1, 0
	s_and_b64 s[36:37], vcc, s[36:37]
	v_cmp_ne_u32_e32 vcc, 0, v5
	s_and_b64 s[36:37], vcc, s[36:37]
	s_and_saveexec_b64 vcc, s[36:37]
	s_cbranch_execz .LBB2_711
; %bb.710:                              ;   in Loop: Header=BB2_682 Depth=2
	v_mov_b32_e32 v3, 1
	s_waitcnt vmcnt(0)
	buffer_wbinvl1_vol
.LBB2_711:                              ;   in Loop: Header=BB2_682 Depth=2
	s_or_b64 exec, exec, vcc
	s_andn2_saveexec_b64 s[28:29], s[28:29]
	s_cbranch_execz .LBB2_750
	s_branch .LBB2_732
.LBB2_712:                              ;   in Loop: Header=BB2_682 Depth=2
	s_or_b64 exec, exec, s[36:37]
	s_and_saveexec_b64 s[28:29], s[10:11]
	s_cbranch_execz .LBB2_708
.LBB2_713:                              ;   in Loop: Header=BB2_682 Depth=2
	s_and_saveexec_b64 vcc, s[52:53]
	s_xor_b64 s[36:37], exec, vcc
	s_cbranch_execz .LBB2_728
; %bb.714:                              ;   in Loop: Header=BB2_682 Depth=2
	s_and_saveexec_b64 s[38:39], s[16:17]
	s_cbranch_execz .LBB2_727
; %bb.715:                              ;   in Loop: Header=BB2_682 Depth=2
	s_mov_b64 s[42:43], exec
	v_mbcnt_lo_u32_b32 v3, s42, 0
	v_mbcnt_hi_u32_b32 v3, s43, v3
	v_cmp_eq_u32_e32 vcc, 0, v3
	s_waitcnt vmcnt(0) lgkmcnt(0)
	buffer_wbinvl1_vol
	s_and_saveexec_b64 s[40:41], vcc
	s_cbranch_execz .LBB2_717
; %bb.716:                              ;   in Loop: Header=BB2_682 Depth=2
	s_bcnt1_i32_b64 vcc_lo, s[42:43]
	v_mov_b32_e32 v4, vcc_lo
	v_mov_b32_e32 v5, v52
	ds_add_u64 v0, v[4:5]
	s_trap 2
.LBB2_717:                              ;   in Loop: Header=BB2_682 Depth=2
	s_or_b64 exec, exec, s[40:41]
	s_trap 2
	ds_read_b64 v[4:5], v0
	v_add_co_u32_e32 v48, vcc, v48, v54
	v_addc_co_u32_e32 v49, vcc, 0, v49, vcc
	s_waitcnt lgkmcnt(0)
	v_cmp_lt_u64_e32 vcc, v[4:5], v[48:49]
	s_and_saveexec_b64 s[40:41], vcc
	s_cbranch_execz .LBB2_726
; %bb.718:                              ;   in Loop: Header=BB2_682 Depth=2
	s_mov_b32 s66, 0
	s_mov_b64 s[42:43], 0
                                        ; implicit-def: $sgpr44_sgpr45
                                        ; implicit-def: $sgpr60_sgpr61
	s_branch .LBB2_720
.LBB2_719:                              ;   in Loop: Header=BB2_720 Depth=3
	s_or_b64 exec, exec, s[64:65]
	s_and_b64 vcc, exec, vcc
	s_or_b64 s[42:43], vcc, s[42:43]
	s_andn2_b64 vcc, s[44:45], exec
	s_and_b64 s[44:45], s[60:61], exec
	s_or_b64 s[44:45], vcc, s[44:45]
	s_andn2_b64 exec, exec, s[42:43]
	s_cbranch_execz .LBB2_724
.LBB2_720:                              ;   Parent Loop BB2_47 Depth=1
                                        ;     Parent Loop BB2_682 Depth=2
                                        ; =>    This Inner Loop Header: Depth=3
	s_add_i32 s66, s66, 1
	s_cmpk_lg_i32 s66, 0x2710
	s_cselect_b64 s[62:63], -1, 0
	s_and_b64 vcc, exec, s[62:63]
                                        ; implicit-def: $sgpr64_sgpr65
	s_cbranch_vccnz .LBB2_722
; %bb.721:                              ;   in Loop: Header=BB2_720 Depth=3
	s_trap 2
	ds_read_b64 v[4:5], v0
	s_andn2_b64 s[62:63], s[62:63], exec
	s_mov_b32 s66, 0
	s_mov_b64 s[64:65], -1
	s_waitcnt lgkmcnt(0)
	flat_load_dword v3, v[4:5] glc
	s_waitcnt vmcnt(0) lgkmcnt(0)
	buffer_invl2
	buffer_wbinvl1_vol
	v_cmp_eq_u32_e32 vcc, 0, v3
	s_and_b64 vcc, vcc, exec
	s_or_b64 s[62:63], s[62:63], vcc
.LBB2_722:                              ;   in Loop: Header=BB2_720 Depth=3
	s_andn2_b64 s[60:61], s[60:61], exec
	s_and_b64 s[64:65], s[64:65], exec
	s_mov_b64 vcc, -1
	s_or_b64 s[60:61], s[60:61], s[64:65]
	s_and_saveexec_b64 s[64:65], s[62:63]
	s_cbranch_execz .LBB2_719
; %bb.723:                              ;   in Loop: Header=BB2_720 Depth=3
	s_sleep 1
	s_trap 2
	ds_read_b64 v[4:5], v0
	s_andn2_b64 s[60:61], s[60:61], exec
	s_waitcnt lgkmcnt(0)
	v_cmp_ge_u64_e32 vcc, v[4:5], v[48:49]
	s_orn2_b64 vcc, vcc, exec
	s_branch .LBB2_719
.LBB2_724:                              ;   in Loop: Header=BB2_682 Depth=2
	s_or_b64 exec, exec, s[42:43]
	s_and_saveexec_b64 vcc, s[44:45]
	s_xor_b64 vcc, exec, vcc
	s_cbranch_execz .LBB2_726
; %bb.725:                              ;   in Loop: Header=BB2_682 Depth=2
	ds_write_b32 v0, v26
	s_trap 2
.LBB2_726:                              ;   in Loop: Header=BB2_682 Depth=2
	s_or_b64 exec, exec, s[40:41]
	;;#ASMSTART
	s_wakeup
	;;#ASMEND
.LBB2_727:                              ;   in Loop: Header=BB2_682 Depth=2
	s_or_b64 exec, exec, s[38:39]
.LBB2_728:                              ;   in Loop: Header=BB2_682 Depth=2
	s_andn2_saveexec_b64 vcc, s[36:37]
	s_cbranch_execz .LBB2_730
; %bb.729:                              ;   in Loop: Header=BB2_682 Depth=2
	s_waitcnt vmcnt(0) lgkmcnt(0)
	buffer_wbinvl1_vol
	s_barrier
.LBB2_730:                              ;   in Loop: Header=BB2_682 Depth=2
	s_or_b64 exec, exec, vcc
	s_or_b64 exec, exec, s[28:29]
                                        ; implicit-def: $vgpr3
	s_and_saveexec_b64 s[28:29], s[24:25]
	s_xor_b64 s[28:29], exec, s[28:29]
	s_cbranch_execnz .LBB2_709
.LBB2_731:                              ;   in Loop: Header=BB2_682 Depth=2
	s_andn2_saveexec_b64 s[28:29], s[28:29]
	s_cbranch_execz .LBB2_750
.LBB2_732:                              ;   in Loop: Header=BB2_682 Depth=2
	s_and_saveexec_b64 vcc, s[52:53]
	s_xor_b64 s[36:37], exec, vcc
	s_cbranch_execz .LBB2_747
; %bb.733:                              ;   in Loop: Header=BB2_682 Depth=2
	s_and_saveexec_b64 s[38:39], s[16:17]
	s_cbranch_execz .LBB2_746
; %bb.734:                              ;   in Loop: Header=BB2_682 Depth=2
	s_mov_b64 s[42:43], exec
	v_mbcnt_lo_u32_b32 v3, s42, 0
	v_mbcnt_hi_u32_b32 v3, s43, v3
	v_cmp_eq_u32_e32 vcc, 0, v3
	;;#ASMSTART
	s_waitcnt lgkmcnt(0) vmcnt(0)
	;;#ASMEND
	s_and_saveexec_b64 s[40:41], vcc
	s_cbranch_execz .LBB2_736
; %bb.735:                              ;   in Loop: Header=BB2_682 Depth=2
	s_bcnt1_i32_b64 vcc_lo, s[42:43]
	v_mov_b32_e32 v4, vcc_lo
	v_mov_b32_e32 v5, v52
	ds_add_u64 v0, v[4:5]
	s_trap 2
.LBB2_736:                              ;   in Loop: Header=BB2_682 Depth=2
	s_or_b64 exec, exec, s[40:41]
	s_trap 2
	ds_read_b64 v[4:5], v0
	v_add_co_u32_e32 v48, vcc, v48, v54
	v_addc_co_u32_e32 v49, vcc, 0, v49, vcc
	s_waitcnt lgkmcnt(0)
	v_cmp_lt_u64_e32 vcc, v[4:5], v[48:49]
	s_and_saveexec_b64 s[40:41], vcc
	s_cbranch_execz .LBB2_745
; %bb.737:                              ;   in Loop: Header=BB2_682 Depth=2
	s_mov_b32 s66, 0
	s_mov_b64 s[42:43], 0
                                        ; implicit-def: $sgpr44_sgpr45
                                        ; implicit-def: $sgpr60_sgpr61
	s_branch .LBB2_739
.LBB2_738:                              ;   in Loop: Header=BB2_739 Depth=3
	s_or_b64 exec, exec, s[64:65]
	s_and_b64 vcc, exec, vcc
	s_or_b64 s[42:43], vcc, s[42:43]
	s_andn2_b64 vcc, s[44:45], exec
	s_and_b64 s[44:45], s[60:61], exec
	s_or_b64 s[44:45], vcc, s[44:45]
	s_andn2_b64 exec, exec, s[42:43]
	s_cbranch_execz .LBB2_743
.LBB2_739:                              ;   Parent Loop BB2_47 Depth=1
                                        ;     Parent Loop BB2_682 Depth=2
                                        ; =>    This Inner Loop Header: Depth=3
	s_add_i32 s66, s66, 1
	s_cmpk_lg_i32 s66, 0x2710
	s_cselect_b64 s[62:63], -1, 0
	s_and_b64 vcc, exec, s[62:63]
                                        ; implicit-def: $sgpr64_sgpr65
	s_cbranch_vccnz .LBB2_741
; %bb.740:                              ;   in Loop: Header=BB2_739 Depth=3
	s_trap 2
	ds_read_b64 v[4:5], v0
	s_andn2_b64 s[62:63], s[62:63], exec
	s_mov_b32 s66, 0
	s_mov_b64 s[64:65], -1
	s_waitcnt vmcnt(0) lgkmcnt(0)
	flat_load_dword v3, v[4:5] glc
	s_waitcnt vmcnt(0) lgkmcnt(0)
	buffer_invl2
	buffer_wbinvl1_vol
	v_cmp_eq_u32_e32 vcc, 0, v3
	s_and_b64 vcc, vcc, exec
	s_or_b64 s[62:63], s[62:63], vcc
.LBB2_741:                              ;   in Loop: Header=BB2_739 Depth=3
	s_andn2_b64 s[60:61], s[60:61], exec
	s_and_b64 s[64:65], s[64:65], exec
	s_mov_b64 vcc, -1
	s_or_b64 s[60:61], s[60:61], s[64:65]
	s_and_saveexec_b64 s[64:65], s[62:63]
	s_cbranch_execz .LBB2_738
; %bb.742:                              ;   in Loop: Header=BB2_739 Depth=3
	s_sleep 1
	s_trap 2
	ds_read_b64 v[4:5], v0
	s_andn2_b64 s[60:61], s[60:61], exec
	s_waitcnt lgkmcnt(0)
	v_cmp_ge_u64_e32 vcc, v[4:5], v[48:49]
	s_orn2_b64 vcc, vcc, exec
	s_branch .LBB2_738
.LBB2_743:                              ;   in Loop: Header=BB2_682 Depth=2
	s_or_b64 exec, exec, s[42:43]
	s_and_saveexec_b64 vcc, s[44:45]
	s_xor_b64 vcc, exec, vcc
	s_cbranch_execz .LBB2_745
; %bb.744:                              ;   in Loop: Header=BB2_682 Depth=2
	ds_write_b32 v0, v26
	s_trap 2
.LBB2_745:                              ;   in Loop: Header=BB2_682 Depth=2
	s_or_b64 exec, exec, s[40:41]
	;;#ASMSTART
	s_wakeup
	;;#ASMEND
.LBB2_746:                              ;   in Loop: Header=BB2_682 Depth=2
	s_or_b64 exec, exec, s[38:39]
.LBB2_747:                              ;   in Loop: Header=BB2_682 Depth=2
	s_andn2_saveexec_b64 vcc, s[36:37]
	s_cbranch_execz .LBB2_749
; %bb.748:                              ;   in Loop: Header=BB2_682 Depth=2
	;;#ASMSTART
	s_waitcnt lgkmcnt(0) vmcnt(0)
	;;#ASMEND
	s_barrier
.LBB2_749:                              ;   in Loop: Header=BB2_682 Depth=2
	s_or_b64 exec, exec, vcc
	v_and_b32_e32 v3, 16, v62
.LBB2_750:                              ;   in Loop: Header=BB2_682 Depth=2
	s_or_b64 exec, exec, s[28:29]
	v_cmp_ne_u32_e32 vcc, 0, v3
	s_xor_b64 s[28:29], s[12:13], -1
	s_and_b64 vcc, vcc, s[28:29]
	s_and_saveexec_b64 s[28:29], vcc
	s_cbranch_execz .LBB2_752
; %bb.751:                              ;   in Loop: Header=BB2_682 Depth=2
	flat_store_dword v[46:47], v26
.LBB2_752:                              ;   in Loop: Header=BB2_682 Depth=2
	s_or_b64 exec, exec, s[28:29]
	v_and_b32_e32 v3, 48, v62
	v_cmp_ne_u32_e32 vcc, 0, v3
	s_and_saveexec_b64 s[28:29], vcc
	s_cbranch_execz .LBB2_681
; %bb.753:                              ;   in Loop: Header=BB2_682 Depth=2
	v_add_co_u32_e32 v32, vcc, 2, v32
	v_addc_co_u32_e32 v33, vcc, 0, v33, vcc
	flat_store_dwordx2 v[34:35], v[32:33]
	s_branch .LBB2_681
.LBB2_754:                              ;   in Loop: Header=BB2_47 Depth=1
	s_or_b64 exec, exec, s[62:63]
	s_or_b64 exec, exec, s[60:61]
	v_cmp_gt_i32_e32 vcc, 2, v3
	s_and_saveexec_b64 s[30:31], vcc
	s_cbranch_execnz .LBB2_680
.LBB2_755:                              ;   in Loop: Header=BB2_47 Depth=1
	s_or_b64 exec, exec, s[30:31]
	s_and_b64 vcc, exec, s[26:27]
	s_cbranch_vccz .LBB2_757
	s_branch .LBB2_1020
.LBB2_756:                              ;   in Loop: Header=BB2_47 Depth=1
	s_or_b64 exec, exec, s[34:35]
	s_or_b64 exec, exec, s[30:31]
	s_and_b64 vcc, exec, s[26:27]
	s_cbranch_vccnz .LBB2_1020
.LBB2_757:                              ;   in Loop: Header=BB2_47 Depth=1
	s_mov_b32 s66, 1
.LBB2_758:                              ;   Parent Loop BB2_47 Depth=1
                                        ; =>  This Loop Header: Depth=2
                                        ;       Child Loop BB2_761 Depth 3
                                        ;         Child Loop BB2_769 Depth 4
                                        ;         Child Loop BB2_797 Depth 4
	;; [unrolled: 1-line block ×4, first 2 shown]
                                        ;           Child Loop BB2_838 Depth 5
                                        ;         Child Loop BB2_844 Depth 4
                                        ;           Child Loop BB2_845 Depth 5
                                        ;         Child Loop BB2_854 Depth 4
                                        ;         Child Loop BB2_859 Depth 4
                                        ;           Child Loop BB2_860 Depth 5
                                        ;         Child Loop BB2_873 Depth 4
                                        ;         Child Loop BB2_878 Depth 4
                                        ;         Child Loop BB2_886 Depth 4
                                        ;         Child Loop BB2_891 Depth 4
                                        ;         Child Loop BB2_902 Depth 4
                                        ;         Child Loop BB2_925 Depth 4
                                        ;       Child Loop BB2_943 Depth 3
                                        ;         Child Loop BB2_949 Depth 4
                                        ;         Child Loop BB2_981 Depth 4
	;; [unrolled: 1-line block ×3, first 2 shown]
	s_sub_i32 s26, s76, s66
	s_cmp_le_i32 s72, s26
	s_cselect_b32 s27, s72, 0
	s_sub_i32 s26, s26, s27
	v_accvgpr_read_b32 v8, a30
	s_ashr_i32 s27, s26, 31
	v_accvgpr_read_b32 v9, a31
	v_mul_lo_u32 v4, v8, s27
	v_mul_lo_u32 v5, v9, s26
	v_mad_u64_u32 v[2:3], s[26:27], v8, s26, 0
	v_add3_u32 v3, v3, v4, v5
	v_accvgpr_read_b32 v4, a32
	v_accvgpr_read_b32 v5, a33
	v_sub_co_u32_e32 v4, vcc, v4, v2
	v_subb_co_u32_e32 v5, vcc, v5, v3, vcc
	v_cmp_lt_i64_e32 vcc, v[8:9], v[4:5]
	v_cndmask_b32_e32 v4, v4, v8, vcc
	v_max_i32_e32 v20, 0, v4
	v_add_u32_e32 v5, 31, v20
	v_lshrrev_b32_e32 v5, 1, v5
	v_and_b32_e32 v5, 0x3ffffff0, v5
	v_cmp_lt_i32_e32 vcc, 0, v4
	v_max_i32_e32 v14, s79, v5
	s_and_b64 s[26:27], s[58:59], vcc
	v_mov_b32_e32 v4, 0
	v_mov_b32_e32 v16, 0
	s_and_saveexec_b64 s[36:37], s[26:27]
	s_cbranch_execz .LBB2_940
; %bb.759:                              ;   in Loop: Header=BB2_758 Depth=2
	v_accvgpr_read_b32 v4, a34
	v_accvgpr_read_b32 v5, a35
	v_add_co_u32_e32 v2, vcc, v2, v4
	v_addc_co_u32_e32 v3, vcc, v3, v5, vcc
	s_mov_b32 s67, 1
	s_mov_b64 s[40:41], -1
	s_mov_b64 s[38:39], 0
	v_mov_b32_e32 v16, 0
	v_lshlrev_b64 v[18:19], 2, v[2:3]
	s_branch .LBB2_761
.LBB2_760:                              ;   in Loop: Header=BB2_761 Depth=3
	s_or_b64 exec, exec, s[26:27]
	v_add_u32_e32 v16, v14, v16
	v_cmp_ge_i32_e32 vcc, v16, v20
	s_xor_b64 s[26:27], s[40:41], -1
	s_or_b64 s[26:27], s[26:27], vcc
	s_and_b64 s[26:27], exec, s[26:27]
	s_or_b64 s[38:39], s[26:27], s[38:39]
	s_mov_b64 s[40:41], 0
	v_mov_b32_e32 v4, s67
	s_mov_b32 s67, 2
	s_andn2_b64 exec, exec, s[38:39]
	s_cbranch_execz .LBB2_1015
.LBB2_761:                              ;   Parent Loop BB2_47 Depth=1
                                        ;     Parent Loop BB2_758 Depth=2
                                        ; =>    This Loop Header: Depth=3
                                        ;         Child Loop BB2_769 Depth 4
                                        ;         Child Loop BB2_797 Depth 4
	;; [unrolled: 1-line block ×4, first 2 shown]
                                        ;           Child Loop BB2_838 Depth 5
                                        ;         Child Loop BB2_844 Depth 4
                                        ;           Child Loop BB2_845 Depth 5
                                        ;         Child Loop BB2_854 Depth 4
                                        ;         Child Loop BB2_859 Depth 4
                                        ;           Child Loop BB2_860 Depth 5
                                        ;         Child Loop BB2_873 Depth 4
                                        ;         Child Loop BB2_878 Depth 4
	;; [unrolled: 1-line block ×6, first 2 shown]
	s_and_saveexec_b64 s[26:27], s[4:5]
	s_cbranch_execz .LBB2_763
; %bb.762:                              ;   in Loop: Header=BB2_761 Depth=3
	s_trap 2
	ds_read_b128 v[2:5], v0
	v_ashrrev_i32_e32 v17, 31, v16
	s_waitcnt lgkmcnt(0)
	v_add_co_u32_e32 v8, vcc, v2, v18
	v_addc_co_u32_e32 v9, vcc, v3, v19, vcc
	v_lshlrev_b64 v[2:3], 2, v[16:17]
	v_add_co_u32_e32 v8, vcc, v8, v2
	v_addc_co_u32_e32 v9, vcc, v9, v3, vcc
	ds_write_b64 v0, v[8:9]
	v_add_co_u32_e32 v8, vcc, v4, v18
	v_addc_co_u32_e32 v9, vcc, v5, v19, vcc
	v_add_co_u32_e32 v2, vcc, v8, v2
	v_addc_co_u32_e32 v3, vcc, v9, v3, vcc
	v_cmp_ne_u64_e32 vcc, 0, v[4:5]
	v_cndmask_b32_e32 v3, 0, v3, vcc
	v_cndmask_b32_e32 v2, 0, v2, vcc
	ds_write_b64 v0, v[2:3]
.LBB2_763:                              ;   in Loop: Header=BB2_761 Depth=3
	s_or_b64 exec, exec, s[26:27]
	v_and_b32_e32 v2, 12, v62
	v_cmp_ne_u32_e32 vcc, 0, v2
	s_mov_b64 s[28:29], -1
	s_and_saveexec_b64 s[26:27], vcc
	s_cbranch_execz .LBB2_775
; %bb.764:                              ;   in Loop: Header=BB2_761 Depth=3
	v_and_b32_e32 v2, 8, v62
	v_add_co_u32_e32 v8, vcc, v50, v2
	v_addc_co_u32_e32 v9, vcc, 0, v51, vcc
	v_add_co_u32_e32 v4, vcc, 2, v32
	v_addc_co_u32_e32 v5, vcc, 0, v33, vcc
	v_cmp_lt_u64_e32 vcc, v[8:9], v[4:5]
	v_mov_b32_e32 v3, 1
	s_and_saveexec_b64 s[28:29], vcc
	s_cbranch_execz .LBB2_774
; %bb.765:                              ;   in Loop: Header=BB2_761 Depth=3
	s_mov_b64 s[30:31], 0
	v_mov_b32_e32 v3, 0
                                        ; implicit-def: $sgpr34_sgpr35
	s_branch .LBB2_769
.LBB2_766:                              ;   in Loop: Header=BB2_769 Depth=4
	s_or_b64 exec, exec, s[62:63]
	v_mov_b32_e32 v8, 0
	s_orn2_b64 s[60:61], s[60:61], exec
.LBB2_767:                              ;   in Loop: Header=BB2_769 Depth=4
	s_or_b64 exec, exec, s[44:45]
	s_andn2_b64 vcc, s[34:35], exec
	s_and_b64 s[34:35], s[60:61], exec
	s_or_b64 s[34:35], vcc, s[34:35]
	v_mov_b32_e32 v3, v8
.LBB2_768:                              ;   in Loop: Header=BB2_769 Depth=4
	s_or_b64 exec, exec, s[42:43]
	s_waitcnt vmcnt(0) lgkmcnt(0)
	v_add_co_u32_e32 v8, vcc, v50, v2
	v_addc_co_u32_e32 v9, vcc, 0, v51, vcc
	v_cmp_ge_u64_e32 vcc, v[8:9], v[4:5]
	s_xor_b64 s[42:43], s[34:35], -1
	s_or_b64 vcc, s[42:43], vcc
	s_and_b64 vcc, exec, vcc
	s_or_b64 s[30:31], vcc, s[30:31]
	s_andn2_b64 exec, exec, s[30:31]
	s_cbranch_execz .LBB2_773
.LBB2_769:                              ;   Parent Loop BB2_47 Depth=1
                                        ;     Parent Loop BB2_758 Depth=2
                                        ;       Parent Loop BB2_761 Depth=3
                                        ; =>      This Inner Loop Header: Depth=4
	s_sleep 1
	flat_load_dwordx2 v[50:51], v[34:35] glc
	v_and_b32_e32 v8, 64, v62
	v_cmp_eq_u32_e32 vcc, 0, v8
	s_andn2_b64 s[34:35], s[34:35], exec
	s_and_saveexec_b64 s[42:43], vcc
	s_cbranch_execz .LBB2_768
; %bb.770:                              ;   in Loop: Header=BB2_769 Depth=4
	v_add_u32_e32 v8, 1, v3
	v_cmp_lt_i32_e32 vcc, s83, v3
	s_mov_b64 s[60:61], -1
	s_and_saveexec_b64 s[44:45], vcc
	s_cbranch_execz .LBB2_767
; %bb.771:                              ;   in Loop: Header=BB2_769 Depth=4
	s_trap 2
	ds_read_b64 v[8:9], v0
	s_waitcnt vmcnt(0) lgkmcnt(0)
	flat_load_dword v3, v[8:9] glc
	s_waitcnt vmcnt(0) lgkmcnt(0)
	buffer_invl2
	buffer_wbinvl1_vol
	v_cmp_ne_u32_e32 vcc, 0, v3
	s_and_saveexec_b64 s[62:63], vcc
	s_cbranch_execz .LBB2_766
; %bb.772:                              ;   in Loop: Header=BB2_769 Depth=4
	v_or_b32_e32 v62, 64, v62
	s_xor_b64 s[60:61], exec, -1
	ds_write_b32 v0, v3
	s_trap 2
	s_branch .LBB2_766
.LBB2_773:                              ;   in Loop: Header=BB2_761 Depth=3
	s_or_b64 exec, exec, s[30:31]
	v_and_b32_e32 v3, 12, v62
.LBB2_774:                              ;   in Loop: Header=BB2_761 Depth=3
	s_or_b64 exec, exec, s[28:29]
	v_cmp_eq_u32_e32 vcc, 0, v3
	s_orn2_b64 s[28:29], vcc, exec
	;;#ASMSTART
	s_wakeup
	;;#ASMEND
.LBB2_775:                              ;   in Loop: Header=BB2_761 Depth=3
	s_or_b64 exec, exec, s[26:27]
	v_sub_u32_e32 v2, v20, v16
	s_xor_b64 s[26:27], s[28:29], -1
	v_min_i32_e32 v14, v14, v2
	s_and_saveexec_b64 s[28:29], s[26:27]
	s_cbranch_execz .LBB2_789
; %bb.776:                              ;   in Loop: Header=BB2_761 Depth=3
	v_and_b32_e32 v2, 0x108, v62
	v_cmp_ne_u32_e32 vcc, s84, v2
	v_and_b32_e32 v2, 7, v32
	s_and_saveexec_b64 s[26:27], vcc
	s_xor_b64 s[26:27], exec, s[26:27]
                                        ; implicit-def: $vgpr4_vgpr5
; %bb.777:                              ;   in Loop: Header=BB2_761 Depth=3
	v_mov_b32_e32 v5, v52
; %bb.778:                              ;   in Loop: Header=BB2_761 Depth=3
	s_andn2_saveexec_b64 s[26:27], s[26:27]
	s_cbranch_execz .LBB2_780
; %bb.779:                              ;   in Loop: Header=BB2_761 Depth=3
	v_ashrrev_i32_e32 v15, 31, v14
	v_mov_b32_e32 v5, v52
	v_mad_u64_u32 v[8:9], vcc, v2, 24, v[38:39]
	v_lshlrev_b64 v[10:11], 2, v[14:15]
	flat_store_dwordx2 v[8:9], v[10:11] offset:8
.LBB2_780:                              ;   in Loop: Header=BB2_761 Depth=3
	s_or_b64 exec, exec, s[26:27]
	v_and_b32_e32 v3, 0x100, v62
	v_cmp_ne_u32_e32 vcc, 0, v3
	s_mov_b64 s[26:27], -1
                                        ; implicit-def: $vgpr8_vgpr9
	s_and_saveexec_b64 s[30:31], vcc
	s_cbranch_execz .LBB2_784
; %bb.781:                              ;   in Loop: Header=BB2_761 Depth=3
	v_mad_u64_u32 v[10:11], s[26:27], v2, 24, v[38:39]
	v_mov_b32_e32 v4, v11
	v_mad_u64_u32 v[8:9], s[26:27], v5, 24, v[4:5]
	v_mov_b32_e32 v11, v8
	flat_load_dword v3, v[10:11]
                                        ; implicit-def: $vgpr8_vgpr9
	s_waitcnt vmcnt(0) lgkmcnt(0)
	v_cmp_ne_u32_e32 vcc, 1, v3
	v_cmp_eq_u32_e64 s[26:27], 1, v3
	s_and_saveexec_b64 s[34:35], s[26:27]
	s_cbranch_execz .LBB2_783
; %bb.782:                              ;   in Loop: Header=BB2_761 Depth=3
	flat_load_dword v8, v[10:11] offset:4 glc
	s_waitcnt vmcnt(0) lgkmcnt(0)
	v_ashrrev_i32_e32 v9, 31, v8
	v_lshrrev_b64 v[8:9], 2, v[8:9]
.LBB2_783:                              ;   in Loop: Header=BB2_761 Depth=3
	s_or_b64 exec, exec, s[34:35]
	s_orn2_b64 s[26:27], vcc, exec
.LBB2_784:                              ;   in Loop: Header=BB2_761 Depth=3
	s_or_b64 exec, exec, s[30:31]
	s_and_saveexec_b64 vcc, s[26:27]
; %bb.785:                              ;   in Loop: Header=BB2_761 Depth=3
	v_mul_lo_u32 v3, v5, v30
	v_mul_lo_u32 v4, v2, v45
	v_mad_u64_u32 v[8:9], s[26:27], v2, v30, 0
	v_add3_u32 v9, v9, v4, v3
; %bb.786:                              ;   in Loop: Header=BB2_761 Depth=3
	s_or_b64 exec, exec, vcc
	v_lshlrev_b64 v[2:3], 2, v[8:9]
	v_add_co_u32_e32 v2, vcc, v36, v2
	v_addc_co_u32_e32 v3, vcc, v37, v3, vcc
	s_trap 2
	ds_write_b64 v0, v[2:3]
	v_and_b32_e32 v2, 0x2000, v62
	v_cmp_ne_u32_e32 vcc, 0, v2
	s_and_saveexec_b64 s[26:27], vcc
	s_cbranch_execz .LBB2_788
; %bb.787:                              ;   in Loop: Header=BB2_761 Depth=3
	ds_read_b64 v[2:3], v0 offset:584
	s_waitcnt lgkmcnt(0)
	v_add_co_u32_e32 v2, vcc, 1, v2
	v_addc_co_u32_e32 v3, vcc, 0, v3, vcc
	ds_write_b64 v0, v[2:3] offset:584
.LBB2_788:                              ;   in Loop: Header=BB2_761 Depth=3
	s_or_b64 exec, exec, s[26:27]
	v_add_co_u32_e32 v32, vcc, 2, v32
	v_addc_co_u32_e32 v33, vcc, 0, v33, vcc
.LBB2_789:                              ;   in Loop: Header=BB2_761 Depth=3
	s_or_b64 exec, exec, s[28:29]
	s_and_saveexec_b64 s[26:27], s[10:11]
	s_cbranch_execz .LBB2_808
; %bb.790:                              ;   in Loop: Header=BB2_761 Depth=3
	s_and_saveexec_b64 s[28:29], s[52:53]
	s_xor_b64 s[28:29], exec, s[28:29]
	s_cbranch_execz .LBB2_805
; %bb.791:                              ;   in Loop: Header=BB2_761 Depth=3
	s_and_saveexec_b64 s[30:31], s[16:17]
	s_cbranch_execz .LBB2_804
; %bb.792:                              ;   in Loop: Header=BB2_761 Depth=3
	s_mov_b64 s[42:43], exec
	v_mbcnt_lo_u32_b32 v2, s42, 0
	v_mbcnt_hi_u32_b32 v2, s43, v2
	v_cmp_eq_u32_e32 vcc, 0, v2
	s_waitcnt vmcnt(0) lgkmcnt(0)
	buffer_wbinvl1_vol
	s_and_saveexec_b64 s[34:35], vcc
	s_cbranch_execz .LBB2_794
; %bb.793:                              ;   in Loop: Header=BB2_761 Depth=3
	s_bcnt1_i32_b64 vcc_lo, s[42:43]
	v_mov_b32_e32 v2, vcc_lo
	v_mov_b32_e32 v3, v52
	ds_add_u64 v0, v[2:3]
	s_trap 2
.LBB2_794:                              ;   in Loop: Header=BB2_761 Depth=3
	s_or_b64 exec, exec, s[34:35]
	s_trap 2
	ds_read_b64 v[2:3], v0
	v_add_co_u32_e32 v48, vcc, v48, v54
	v_addc_co_u32_e32 v49, vcc, 0, v49, vcc
	s_waitcnt lgkmcnt(0)
	v_cmp_lt_u64_e32 vcc, v[2:3], v[48:49]
	s_and_saveexec_b64 s[34:35], vcc
	s_cbranch_execz .LBB2_803
; %bb.795:                              ;   in Loop: Header=BB2_761 Depth=3
	s_mov_b32 s68, 0
	s_mov_b64 s[42:43], 0
                                        ; implicit-def: $sgpr44_sgpr45
                                        ; implicit-def: $sgpr60_sgpr61
	s_branch .LBB2_797
.LBB2_796:                              ;   in Loop: Header=BB2_797 Depth=4
	s_or_b64 exec, exec, s[64:65]
	s_and_b64 vcc, exec, vcc
	s_or_b64 s[42:43], vcc, s[42:43]
	s_andn2_b64 vcc, s[44:45], exec
	s_and_b64 s[44:45], s[60:61], exec
	s_or_b64 s[44:45], vcc, s[44:45]
	s_andn2_b64 exec, exec, s[42:43]
	s_cbranch_execz .LBB2_801
.LBB2_797:                              ;   Parent Loop BB2_47 Depth=1
                                        ;     Parent Loop BB2_758 Depth=2
                                        ;       Parent Loop BB2_761 Depth=3
                                        ; =>      This Inner Loop Header: Depth=4
	s_add_i32 s68, s68, 1
	s_cmpk_lg_i32 s68, 0x2710
	s_cselect_b64 s[62:63], -1, 0
	s_and_b64 vcc, exec, s[62:63]
                                        ; implicit-def: $sgpr64_sgpr65
	s_cbranch_vccnz .LBB2_799
; %bb.798:                              ;   in Loop: Header=BB2_797 Depth=4
	s_trap 2
	ds_read_b64 v[2:3], v0
	s_andn2_b64 s[62:63], s[62:63], exec
	s_mov_b32 s68, 0
	s_mov_b64 s[64:65], -1
	s_waitcnt lgkmcnt(0)
	flat_load_dword v2, v[2:3] glc
	s_waitcnt vmcnt(0) lgkmcnt(0)
	buffer_invl2
	buffer_wbinvl1_vol
	v_cmp_eq_u32_e32 vcc, 0, v2
	s_and_b64 vcc, vcc, exec
	s_or_b64 s[62:63], s[62:63], vcc
.LBB2_799:                              ;   in Loop: Header=BB2_797 Depth=4
	s_andn2_b64 s[60:61], s[60:61], exec
	s_and_b64 s[64:65], s[64:65], exec
	s_mov_b64 vcc, -1
	s_or_b64 s[60:61], s[60:61], s[64:65]
	s_and_saveexec_b64 s[64:65], s[62:63]
	s_cbranch_execz .LBB2_796
; %bb.800:                              ;   in Loop: Header=BB2_797 Depth=4
	s_sleep 1
	s_trap 2
	ds_read_b64 v[2:3], v0
	s_andn2_b64 s[60:61], s[60:61], exec
	s_waitcnt lgkmcnt(0)
	v_cmp_ge_u64_e32 vcc, v[2:3], v[48:49]
	s_orn2_b64 vcc, vcc, exec
	s_branch .LBB2_796
.LBB2_801:                              ;   in Loop: Header=BB2_761 Depth=3
	s_or_b64 exec, exec, s[42:43]
	s_and_saveexec_b64 vcc, s[44:45]
	s_xor_b64 vcc, exec, vcc
	s_cbranch_execz .LBB2_803
; %bb.802:                              ;   in Loop: Header=BB2_761 Depth=3
	ds_write_b32 v0, v26
	s_trap 2
.LBB2_803:                              ;   in Loop: Header=BB2_761 Depth=3
	s_or_b64 exec, exec, s[34:35]
	;;#ASMSTART
	s_wakeup
	;;#ASMEND
.LBB2_804:                              ;   in Loop: Header=BB2_761 Depth=3
	s_or_b64 exec, exec, s[30:31]
.LBB2_805:                              ;   in Loop: Header=BB2_761 Depth=3
	s_andn2_saveexec_b64 s[28:29], s[28:29]
	s_cbranch_execz .LBB2_807
; %bb.806:                              ;   in Loop: Header=BB2_761 Depth=3
	s_waitcnt vmcnt(0) lgkmcnt(0)
	buffer_wbinvl1_vol
	s_barrier
.LBB2_807:                              ;   in Loop: Header=BB2_761 Depth=3
	s_or_b64 exec, exec, s[28:29]
.LBB2_808:                              ;   in Loop: Header=BB2_761 Depth=3
	s_or_b64 exec, exec, s[26:27]
	s_trap 2
	ds_read_b32 v2, v0
	v_and_b32_e32 v3, 0x4000, v62
	v_cmp_ne_u32_e32 vcc, 0, v3
	s_xor_b64 s[26:27], s[6:7], -1
	s_and_b64 s[28:29], s[26:27], vcc
	s_and_saveexec_b64 s[26:27], s[28:29]
	s_cbranch_execz .LBB2_827
; %bb.809:                              ;   in Loop: Header=BB2_761 Depth=3
	s_and_saveexec_b64 s[28:29], s[52:53]
	s_xor_b64 s[28:29], exec, s[28:29]
	s_cbranch_execz .LBB2_824
; %bb.810:                              ;   in Loop: Header=BB2_761 Depth=3
	s_and_saveexec_b64 s[30:31], s[16:17]
	s_cbranch_execz .LBB2_823
; %bb.811:                              ;   in Loop: Header=BB2_761 Depth=3
	s_mov_b64 s[42:43], exec
	v_mbcnt_lo_u32_b32 v3, s42, 0
	v_mbcnt_hi_u32_b32 v3, s43, v3
	v_cmp_eq_u32_e32 vcc, 0, v3
	s_waitcnt vmcnt(0) lgkmcnt(0)
	buffer_wbinvl1_vol
	s_and_saveexec_b64 s[34:35], vcc
	s_cbranch_execz .LBB2_813
; %bb.812:                              ;   in Loop: Header=BB2_761 Depth=3
	s_bcnt1_i32_b64 vcc_lo, s[42:43]
	v_mov_b32_e32 v4, vcc_lo
	v_mov_b32_e32 v5, v52
	ds_add_u64 v0, v[4:5]
	s_trap 2
.LBB2_813:                              ;   in Loop: Header=BB2_761 Depth=3
	s_or_b64 exec, exec, s[34:35]
	s_trap 2
	ds_read_b64 v[4:5], v0
	v_add_co_u32_e32 v48, vcc, v48, v54
	v_addc_co_u32_e32 v49, vcc, 0, v49, vcc
	s_waitcnt lgkmcnt(0)
	v_cmp_lt_u64_e32 vcc, v[4:5], v[48:49]
	s_and_saveexec_b64 s[34:35], vcc
	s_cbranch_execz .LBB2_822
; %bb.814:                              ;   in Loop: Header=BB2_761 Depth=3
	s_mov_b32 s68, 0
	s_mov_b64 s[42:43], 0
                                        ; implicit-def: $sgpr44_sgpr45
                                        ; implicit-def: $sgpr60_sgpr61
	s_branch .LBB2_816
.LBB2_815:                              ;   in Loop: Header=BB2_816 Depth=4
	s_or_b64 exec, exec, s[64:65]
	s_and_b64 vcc, exec, vcc
	s_or_b64 s[42:43], vcc, s[42:43]
	s_andn2_b64 vcc, s[44:45], exec
	s_and_b64 s[44:45], s[60:61], exec
	s_or_b64 s[44:45], vcc, s[44:45]
	s_andn2_b64 exec, exec, s[42:43]
	s_cbranch_execz .LBB2_820
.LBB2_816:                              ;   Parent Loop BB2_47 Depth=1
                                        ;     Parent Loop BB2_758 Depth=2
                                        ;       Parent Loop BB2_761 Depth=3
                                        ; =>      This Inner Loop Header: Depth=4
	s_add_i32 s68, s68, 1
	s_cmpk_lg_i32 s68, 0x2710
	s_cselect_b64 s[62:63], -1, 0
	s_and_b64 vcc, exec, s[62:63]
                                        ; implicit-def: $sgpr64_sgpr65
	s_cbranch_vccnz .LBB2_818
; %bb.817:                              ;   in Loop: Header=BB2_816 Depth=4
	s_trap 2
	ds_read_b64 v[4:5], v0
	s_andn2_b64 s[62:63], s[62:63], exec
	s_mov_b32 s68, 0
	s_mov_b64 s[64:65], -1
	s_waitcnt lgkmcnt(0)
	flat_load_dword v3, v[4:5] glc
	s_waitcnt vmcnt(0) lgkmcnt(0)
	buffer_invl2
	buffer_wbinvl1_vol
	v_cmp_eq_u32_e32 vcc, 0, v3
	s_and_b64 vcc, vcc, exec
	s_or_b64 s[62:63], s[62:63], vcc
.LBB2_818:                              ;   in Loop: Header=BB2_816 Depth=4
	s_andn2_b64 s[60:61], s[60:61], exec
	s_and_b64 s[64:65], s[64:65], exec
	s_mov_b64 vcc, -1
	s_or_b64 s[60:61], s[60:61], s[64:65]
	s_and_saveexec_b64 s[64:65], s[62:63]
	s_cbranch_execz .LBB2_815
; %bb.819:                              ;   in Loop: Header=BB2_816 Depth=4
	s_sleep 1
	s_trap 2
	ds_read_b64 v[4:5], v0
	s_andn2_b64 s[60:61], s[60:61], exec
	s_waitcnt lgkmcnt(0)
	v_cmp_ge_u64_e32 vcc, v[4:5], v[48:49]
	s_orn2_b64 vcc, vcc, exec
	s_branch .LBB2_815
.LBB2_820:                              ;   in Loop: Header=BB2_761 Depth=3
	s_or_b64 exec, exec, s[42:43]
	s_and_saveexec_b64 vcc, s[44:45]
	s_xor_b64 vcc, exec, vcc
	s_cbranch_execz .LBB2_822
; %bb.821:                              ;   in Loop: Header=BB2_761 Depth=3
	ds_write_b32 v0, v26
	s_trap 2
.LBB2_822:                              ;   in Loop: Header=BB2_761 Depth=3
	s_or_b64 exec, exec, s[34:35]
	;;#ASMSTART
	s_wakeup
	;;#ASMEND
.LBB2_823:                              ;   in Loop: Header=BB2_761 Depth=3
	s_or_b64 exec, exec, s[30:31]
.LBB2_824:                              ;   in Loop: Header=BB2_761 Depth=3
	s_andn2_saveexec_b64 s[28:29], s[28:29]
	s_cbranch_execz .LBB2_826
; %bb.825:                              ;   in Loop: Header=BB2_761 Depth=3
	s_waitcnt vmcnt(0) lgkmcnt(0)
	buffer_wbinvl1_vol
	s_barrier
.LBB2_826:                              ;   in Loop: Header=BB2_761 Depth=3
	s_or_b64 exec, exec, s[28:29]
.LBB2_827:                              ;   in Loop: Header=BB2_761 Depth=3
	s_or_b64 exec, exec, s[26:27]
	s_trap 2
	ds_read_b64 v[4:5], v0
	v_mov_b32_e32 v15, 0
	s_waitcnt lgkmcnt(0)
	v_readfirstlane_b32 s26, v4
	v_readfirstlane_b32 s27, v5
	s_cmp_eq_u64 s[26:27], 0
	s_cselect_b64 s[26:27], -1, 0
	s_or_b64 s[26:27], s[26:27], s[26:27]
	s_and_b64 vcc, exec, s[26:27]
	s_cbranch_vccnz .LBB2_894
; %bb.828:                              ;   in Loop: Header=BB2_761 Depth=3
	s_trap 2
	ds_read_b64 v[4:5], v0
	v_cmp_eq_u32_e32 vcc, 0, v2
	v_cndmask_b32_e32 v15, 0, v14, vcc
	v_lshlrev_b32_e32 v17, 2, v15
	s_mov_b64 s[26:27], -1
	s_waitcnt lgkmcnt(0)
	v_cmp_ne_u64_e32 vcc, 0, v[4:5]
	s_cbranch_vccz .LBB2_864
; %bb.829:                              ;   in Loop: Header=BB2_761 Depth=3
	s_and_saveexec_b64 s[28:29], s[20:21]
	s_cbranch_execz .LBB2_831
; %bb.830:                              ;   in Loop: Header=BB2_761 Depth=3
	ds_read_b32 v2, v0 offset:720
	s_waitcnt lgkmcnt(0)
	v_and_b32_e32 v2, 15, v2
	v_cmp_eq_u32_e32 vcc, 0, v2
	s_orn2_b64 s[26:27], vcc, exec
.LBB2_831:                              ;   in Loop: Header=BB2_761 Depth=3
	s_or_b64 exec, exec, s[28:29]
	s_and_saveexec_b64 s[28:29], s[22:23]
	s_cbranch_execz .LBB2_833
; %bb.832:                              ;   in Loop: Header=BB2_761 Depth=3
	ds_read_b32 v2, v0 offset:784
	s_waitcnt lgkmcnt(0)
	v_and_b32_e32 v2, 15, v2
	v_cmp_eq_u32_e32 vcc, 0, v2
	s_and_b64 vcc, s[26:27], vcc
	s_andn2_b64 s[26:27], s[26:27], exec
	s_and_b64 vcc, vcc, exec
	s_or_b64 s[26:27], s[26:27], vcc
.LBB2_833:                              ;   in Loop: Header=BB2_761 Depth=3
	s_or_b64 exec, exec, s[28:29]
	s_xor_b64 s[26:27], s[26:27], -1
	v_cndmask_b32_e64 v2, 0, 1, s[26:27]
	;;#ASMSTART
	;;#ASMEND
	s_mov_b64 s[28:29], -1
	v_cmp_ne_u32_e32 vcc, 0, v2
	v_mov_b32_e32 v10, 0
	v_mov_b32_e32 v11, v17
	;; [unrolled: 1-line block ×4, first 2 shown]
	s_cbranch_vccz .LBB2_835
; %bb.834:                              ;   in Loop: Header=BB2_761 Depth=3
	s_and_saveexec_b64 s[34:35], s[28:29]
	s_cbranch_execnz .LBB2_852
	s_branch .LBB2_863
.LBB2_835:                              ;   in Loop: Header=BB2_761 Depth=3
	v_ashrrev_i32_e32 v2, 31, v17
	v_lshrrev_b32_e32 v2, 22, v2
	v_add_u32_e32 v2, v17, v2
	v_and_b32_e32 v21, 0xfffffc00, v2
	v_sub_u32_e32 v24, v17, v21
	v_ashrrev_i32_e32 v3, 10, v2
	v_cmp_lt_i32_e64 s[26:27], 15, v24
	v_accvgpr_read_b32 v2, a25
	v_sub_u32_e32 v22, v17, v58
	v_addc_co_u32_e64 v23, vcc, v3, v2, s[26:27]
	v_cmp_lt_i32_e32 vcc, 15, v22
	s_and_saveexec_b64 s[42:43], vcc
	s_cbranch_execz .LBB2_841
; %bb.836:                              ;   in Loop: Header=BB2_761 Depth=3
	s_trap 2
	ds_read_b64 v[2:3], v0
	ds_read_b128 v[8:11], v0
	s_mov_b64 s[44:45], 0
	s_waitcnt lgkmcnt(0)
	v_add_co_u32_e32 v4, vcc, v2, v58
	v_addc_co_u32_e32 v5, vcc, v3, v59, vcc
	v_add_co_u32_e32 v2, vcc, v8, v58
	v_addc_co_u32_e32 v3, vcc, v9, v59, vcc
	;; [unrolled: 2-line block ×3, first 2 shown]
.LBB2_837:                              ;   Parent Loop BB2_47 Depth=1
                                        ;     Parent Loop BB2_758 Depth=2
                                        ;       Parent Loop BB2_761 Depth=3
                                        ; =>      This Loop Header: Depth=4
                                        ;           Child Loop BB2_838 Depth 5
	global_load_dwordx4 v[10:13], v[4:5], off glc slc
	s_mov_b64 s[62:63], -1
	s_mov_b64 s[60:61], 0
	s_waitcnt vmcnt(0)
.LBB2_838:                              ;   Parent Loop BB2_47 Depth=1
                                        ;     Parent Loop BB2_758 Depth=2
                                        ;       Parent Loop BB2_761 Depth=3
                                        ;         Parent Loop BB2_837 Depth=4
                                        ; =>        This Inner Loop Header: Depth=5
	s_cmp_eq_u32 s60, 0
	s_cselect_b64 s[28:29], -1, 0
	s_cmp_eq_u32 s60, 1
	s_cselect_b64 s[34:35], -1, 0
	v_cndmask_b32_e64 v25, 0, 1, s[62:63]
	v_cndmask_b32_e64 v26, v2, v8, s[34:35]
	v_cmp_ne_u32_e64 s[30:31], 1, v25
	v_cndmask_b32_e64 v27, v3, v9, s[34:35]
	v_add_co_u32_e32 v25, vcc, 0x400, v26
	global_store_dwordx4 v[26:27], v[10:13], off glc slc
	v_addc_co_u32_e32 v26, vcc, 0, v27, vcc
	s_mov_b64 s[62:63], 0
	s_mov_b64 s[60:61], 1
	v_cndmask_b32_e64 v8, v8, v25, s[34:35]
	s_and_b64 vcc, exec, s[30:31]
	v_cndmask_b32_e64 v9, v9, v26, s[34:35]
	v_cndmask_b32_e64 v3, v3, v26, s[28:29]
	v_cndmask_b32_e64 v2, v2, v25, s[28:29]
	s_cbranch_vccz .LBB2_838
; %bb.839:                              ;   in Loop: Header=BB2_837 Depth=4
	v_add_co_u32_e32 v2, vcc, v2, v6
	v_addc_co_u32_e32 v3, vcc, v3, v7, vcc
	v_add_co_u32_e32 v8, vcc, v8, v6
	v_addc_co_u32_e32 v9, vcc, v9, v7, vcc
	;; [unrolled: 2-line block ×3, first 2 shown]
	v_sub_u32_e32 v22, v22, v42
	v_cmp_gt_i32_e32 vcc, 16, v22
	s_or_b64 s[44:45], vcc, s[44:45]
	v_sub_u32_e32 v23, v23, v54
	s_andn2_b64 exec, exec, s[44:45]
	s_cbranch_execnz .LBB2_837
; %bb.840:                              ;   in Loop: Header=BB2_761 Depth=3
	s_or_b64 exec, exec, s[44:45]
	v_accvgpr_read_b32 v27, a23
	v_mov_b32_e32 v26, 1
.LBB2_841:                              ;   in Loop: Header=BB2_761 Depth=3
	s_or_b64 exec, exec, s[42:43]
	v_and_b32_e32 v3, 12, v17
	v_cndmask_b32_e64 v22, v24, v3, s[26:27]
	v_cmp_ne_u32_e32 vcc, 0, v22
	s_mov_b64 s[28:29], 0
	v_mov_b32_e32 v10, 0
                                        ; implicit-def: $vgpr11
                                        ; implicit-def: $vgpr12
                                        ; implicit-def: $vgpr2
	s_and_saveexec_b64 s[42:43], vcc
	s_cbranch_execz .LBB2_851
; %bb.842:                              ;   in Loop: Header=BB2_761 Depth=3
	v_sub_u32_e32 v2, v24, v3
	v_cndmask_b32_e64 v2, 0, v2, s[26:27]
	v_cmp_lt_i32_e32 vcc, 0, v23
	v_add_u32_e32 v21, v2, v21
	v_cndmask_b32_e32 v2, 0, v54, vcc
	v_sub_u32_e32 v2, v2, v23
	v_lshl_add_u32 v2, v2, 6, v41
	v_ashrrev_i32_e32 v3, 31, v2
	v_lshrrev_b32_e32 v3, 26, v3
	v_add_u32_e32 v3, v2, v3
	v_ashrrev_i32_e32 v4, 6, v3
	v_and_b32_e32 v3, 0xffffffc0, v3
	v_sub_u32_e32 v23, v2, v3
	v_ashrrev_i32_e32 v3, 31, v22
	v_lshrrev_b32_e32 v3, 22, v3
	v_add_u32_e32 v3, v22, v3
	v_and_b32_e32 v24, 0xfffffc00, v3
	v_lshlrev_b32_e32 v2, 4, v23
	v_sub_u32_e32 v26, v22, v24
	v_lshl_add_u32 v2, v4, 10, v2
	v_ashrrev_i32_e32 v5, 10, v3
	v_cmp_lt_i32_e64 s[26:27], 15, v26
	v_sub_u32_e32 v27, v22, v2
	v_addc_co_u32_e64 v3, vcc, 0, v5, s[26:27]
	v_sub_u32_e32 v25, v3, v4
	v_cmp_lt_i32_e32 vcc, 15, v27
	s_and_saveexec_b64 s[44:45], vcc
	s_cbranch_execz .LBB2_848
; %bb.843:                              ;   in Loop: Header=BB2_761 Depth=3
	s_trap 2
	ds_read_b64 v[4:5], v0
	ds_read_b128 v[8:11], v0
	v_add_u32_e32 v12, v2, v21
	v_ashrrev_i32_e32 v13, 31, v12
	s_mov_b64 s[60:61], 0
	s_waitcnt lgkmcnt(0)
	v_add_co_u32_e32 v4, vcc, v4, v12
	v_addc_co_u32_e32 v5, vcc, v5, v13, vcc
	v_add_co_u32_e32 v2, vcc, v8, v12
	v_addc_co_u32_e32 v3, vcc, v9, v13, vcc
	;; [unrolled: 2-line block ×3, first 2 shown]
.LBB2_844:                              ;   Parent Loop BB2_47 Depth=1
                                        ;     Parent Loop BB2_758 Depth=2
                                        ;       Parent Loop BB2_761 Depth=3
                                        ; =>      This Loop Header: Depth=4
                                        ;           Child Loop BB2_845 Depth 5
	global_load_dwordx4 v[10:13], v[4:5], off glc slc
	s_mov_b64 s[64:65], -1
	s_mov_b64 s[62:63], 0
	s_waitcnt vmcnt(0)
.LBB2_845:                              ;   Parent Loop BB2_47 Depth=1
                                        ;     Parent Loop BB2_758 Depth=2
                                        ;       Parent Loop BB2_761 Depth=3
                                        ;         Parent Loop BB2_844 Depth=4
                                        ; =>        This Inner Loop Header: Depth=5
	s_cmp_eq_u32 s62, 0
	s_cselect_b64 s[28:29], -1, 0
	s_cmp_eq_u32 s62, 1
	v_cndmask_b32_e64 v38, 0, 1, s[64:65]
	s_cselect_b64 s[34:35], -1, 0
	v_cmp_ne_u32_e64 s[30:31], 1, v38
	v_cndmask_b32_e64 v39, v3, v9, s[34:35]
	v_cndmask_b32_e64 v38, v2, v8, s[34:35]
	global_store_dwordx4 v[38:39], v[10:13], off glc slc
	v_add_co_u32_e32 v38, vcc, 0x400, v38
	v_addc_co_u32_e32 v39, vcc, 0, v39, vcc
	s_mov_b64 s[64:65], 0
	s_mov_b64 s[62:63], 1
	v_cndmask_b32_e64 v8, v8, v38, s[34:35]
	s_and_b64 vcc, exec, s[30:31]
	v_cndmask_b32_e64 v9, v9, v39, s[34:35]
	v_cndmask_b32_e64 v3, v3, v39, s[28:29]
	;; [unrolled: 1-line block ×3, first 2 shown]
	s_cbranch_vccz .LBB2_845
; %bb.846:                              ;   in Loop: Header=BB2_844 Depth=4
	v_add_co_u32_e32 v2, vcc, v2, v6
	v_addc_co_u32_e32 v3, vcc, v3, v7, vcc
	v_add_co_u32_e32 v8, vcc, v8, v6
	v_addc_co_u32_e32 v9, vcc, v9, v7, vcc
	;; [unrolled: 2-line block ×3, first 2 shown]
	v_sub_u32_e32 v27, v27, v42
	v_cmp_gt_i32_e32 vcc, 16, v27
	s_or_b64 s[60:61], vcc, s[60:61]
	v_sub_u32_e32 v25, v25, v54
	s_andn2_b64 exec, exec, s[60:61]
	s_cbranch_execnz .LBB2_844
; %bb.847:                              ;   in Loop: Header=BB2_761 Depth=3
	s_or_b64 exec, exec, s[60:61]
	v_accvgpr_read_b32 v39, a13
	v_accvgpr_read_b32 v38, a12
.LBB2_848:                              ;   in Loop: Header=BB2_761 Depth=3
	s_or_b64 exec, exec, s[44:45]
	v_and_b32_e32 v3, 12, v22
	v_cndmask_b32_e64 v11, v26, v3, s[26:27]
	v_cmp_ne_u32_e32 vcc, 0, v11
	s_mov_b64 s[28:29], 0
	v_mov_b32_e32 v10, 0
                                        ; implicit-def: $vgpr12
                                        ; implicit-def: $vgpr2
	s_and_saveexec_b64 s[30:31], vcc
	s_cbranch_execz .LBB2_850
; %bb.849:                              ;   in Loop: Header=BB2_761 Depth=3
	v_sub_u32_e32 v2, v26, v3
	v_cndmask_b32_e64 v2, 0, v2, s[26:27]
	v_cmp_lt_i32_e32 vcc, 0, v25
	v_add3_u32 v10, v24, v21, v2
	v_cndmask_b32_e32 v2, 0, v54, vcc
	v_sub_u32_e32 v2, v2, v25
	v_lshl_add_u32 v12, v2, 6, v23
	v_ashrrev_i32_e32 v2, 31, v12
	v_lshrrev_b32_e32 v2, 26, v2
	v_add_u32_e32 v2, v12, v2
	s_mov_b64 s[28:29], exec
	v_ashrrev_i32_e32 v2, 6, v2
.LBB2_850:                              ;   in Loop: Header=BB2_761 Depth=3
	s_or_b64 exec, exec, s[30:31]
	s_and_b64 s[28:29], s[28:29], exec
	v_accvgpr_read_b32 v27, a23
	v_mov_b32_e32 v26, 1
.LBB2_851:                              ;   in Loop: Header=BB2_761 Depth=3
	s_or_b64 exec, exec, s[42:43]
	s_and_saveexec_b64 s[34:35], s[28:29]
	s_cbranch_execz .LBB2_863
.LBB2_852:                              ;   in Loop: Header=BB2_761 Depth=3
	v_ashrrev_i32_e32 v3, 31, v11
	v_lshrrev_b32_e32 v3, 23, v3
	v_add_u32_e32 v3, v11, v3
	v_ashrrev_i32_e32 v22, 9, v3
	v_sub_u32_e32 v13, v22, v2
	v_ashrrev_i32_e32 v3, 31, v12
	v_cmp_lt_i32_e32 vcc, 0, v13
	v_lshrrev_b32_e32 v21, 26, v3
	s_and_saveexec_b64 s[26:27], vcc
	s_cbranch_execz .LBB2_856
; %bb.853:                              ;   in Loop: Header=BB2_761 Depth=3
	v_add_u32_e32 v3, v12, v21
	v_and_b32_e32 v3, 0x3fffffc0, v3
	v_sub_u32_e32 v3, v12, v3
	s_trap 2
	v_lshlrev_b32_e32 v4, 2, v3
	v_lshlrev_b32_e32 v5, 9, v2
	ds_read_b64 v[2:3], v0
	ds_read_b128 v[24:27], v0
	v_add3_u32 v8, v4, v10, v5
	v_ashrrev_i32_e32 v9, 31, v8
	s_mov_b64 s[28:29], 0
	s_waitcnt lgkmcnt(0)
	v_add_co_u32_e32 v2, vcc, v2, v8
	v_addc_co_u32_e32 v3, vcc, v3, v9, vcc
	v_add_co_u32_e32 v4, vcc, v24, v8
	v_addc_co_u32_e32 v5, vcc, v25, v9, vcc
	;; [unrolled: 2-line block ×3, first 2 shown]
.LBB2_854:                              ;   Parent Loop BB2_47 Depth=1
                                        ;     Parent Loop BB2_758 Depth=2
                                        ;       Parent Loop BB2_761 Depth=3
                                        ; =>      This Inner Loop Header: Depth=4
	flat_load_dword v23, v[2:3] glc slc
	flat_load_dword v24, v[2:3] offset:256 glc slc
	v_add_co_u32_e32 v2, vcc, v2, v31
	v_addc_co_u32_e32 v3, vcc, v3, v1, vcc
	v_sub_u32_e32 v13, v13, v54
	v_cmp_gt_i32_e32 vcc, 1, v13
	s_or_b64 s[28:29], vcc, s[28:29]
	s_waitcnt vmcnt(0) lgkmcnt(0)
	flat_store_dword v[4:5], v23 glc slc
	flat_store_dword v[4:5], v24 offset:256 glc slc
	flat_store_dword v[8:9], v23 glc slc
	flat_store_dword v[8:9], v24 offset:256 glc slc
	v_add_co_u32_e32 v4, vcc, v4, v31
	v_addc_co_u32_e32 v5, vcc, v5, v1, vcc
	v_add_co_u32_e32 v8, vcc, v8, v31
	v_addc_co_u32_e32 v9, vcc, v9, v1, vcc
	s_andn2_b64 exec, exec, s[28:29]
	s_cbranch_execnz .LBB2_854
; %bb.855:                              ;   in Loop: Header=BB2_761 Depth=3
	s_or_b64 exec, exec, s[28:29]
	v_accvgpr_read_b32 v27, a23
	v_mov_b32_e32 v26, 1
.LBB2_856:                              ;   in Loop: Header=BB2_761 Depth=3
	s_or_b64 exec, exec, s[26:27]
	v_lshlrev_b32_e32 v2, 9, v22
	v_cmp_ne_u32_e32 vcc, v11, v2
	s_and_saveexec_b64 s[42:43], vcc
	s_cbranch_execz .LBB2_862
; %bb.857:                              ;   in Loop: Header=BB2_761 Depth=3
	v_add_u32_e32 v3, v12, v21
	v_and_b32_e32 v3, 0xffffffc0, v3
	v_sub_u32_e32 v3, v12, v3
	v_lshlrev_b32_e32 v4, 6, v13
	v_sub_u32_e32 v3, v3, v4
	v_ashrrev_i32_e32 v4, 31, v3
	v_lshrrev_b32_e32 v4, 26, v4
	v_add_u32_e32 v4, v3, v4
	v_and_b32_e32 v5, 0x3fffffc0, v4
	v_sub_u32_e32 v3, v3, v5
	v_lshlrev_b32_e32 v4, 2, v4
	v_and_b32_e32 v4, 0xffffff00, v4
	v_lshlrev_b32_e32 v3, 2, v3
	v_add3_u32 v2, v4, v3, v2
	v_sub_u32_e32 v11, v11, v2
	v_cmp_lt_i32_e32 vcc, 3, v11
	s_and_b64 exec, exec, vcc
	s_cbranch_execz .LBB2_862
; %bb.858:                              ;   in Loop: Header=BB2_761 Depth=3
	s_trap 2
	ds_read_b64 v[4:5], v0
	ds_read_b128 v[22:25], v0
	v_add_u32_e32 v8, v2, v10
	v_ashrrev_i32_e32 v9, 31, v8
	s_mov_b64 s[44:45], 0
	s_waitcnt lgkmcnt(0)
	v_add_co_u32_e32 v4, vcc, v4, v8
	v_addc_co_u32_e32 v5, vcc, v5, v9, vcc
	v_add_co_u32_e32 v2, vcc, v22, v8
	v_addc_co_u32_e32 v3, vcc, v23, v9, vcc
	;; [unrolled: 2-line block ×3, first 2 shown]
.LBB2_859:                              ;   Parent Loop BB2_47 Depth=1
                                        ;     Parent Loop BB2_758 Depth=2
                                        ;       Parent Loop BB2_761 Depth=3
                                        ; =>      This Loop Header: Depth=4
                                        ;           Child Loop BB2_860 Depth 5
	flat_load_dword v10, v[4:5] glc slc
	s_mov_b64 s[62:63], -1
	s_mov_b64 s[60:61], 0
	s_waitcnt vmcnt(0)
.LBB2_860:                              ;   Parent Loop BB2_47 Depth=1
                                        ;     Parent Loop BB2_758 Depth=2
                                        ;       Parent Loop BB2_761 Depth=3
                                        ;         Parent Loop BB2_859 Depth=4
                                        ; =>        This Inner Loop Header: Depth=5
	s_cmp_eq_u32 s60, 0
	s_cselect_b64 s[26:27], -1, 0
	s_cmp_eq_u32 s60, 1
	v_cndmask_b32_e64 v12, 0, 1, s[62:63]
	s_cselect_b64 s[30:31], -1, 0
	v_cmp_ne_u32_e64 s[28:29], 1, v12
	v_cndmask_b32_e64 v13, v3, v9, s[30:31]
	v_cndmask_b32_e64 v12, v2, v8, s[30:31]
	s_waitcnt lgkmcnt(0)
	flat_store_dword v[12:13], v10 glc slc
	v_add_co_u32_e32 v12, vcc, 0x100, v12
	v_addc_co_u32_e32 v13, vcc, 0, v13, vcc
	s_mov_b64 s[62:63], 0
	s_mov_b64 s[60:61], 1
	v_cndmask_b32_e64 v8, v8, v12, s[30:31]
	s_and_b64 vcc, exec, s[28:29]
	v_cndmask_b32_e64 v9, v9, v13, s[30:31]
	v_cndmask_b32_e64 v3, v3, v13, s[26:27]
	;; [unrolled: 1-line block ×3, first 2 shown]
	s_cbranch_vccz .LBB2_860
; %bb.861:                              ;   in Loop: Header=BB2_859 Depth=4
	v_add_co_u32_e32 v2, vcc, v2, v40
	v_addc_co_u32_e32 v3, vcc, v3, v27, vcc
	v_add_co_u32_e32 v8, vcc, v8, v40
	v_addc_co_u32_e32 v9, vcc, v9, v27, vcc
	v_sub_u32_e32 v11, v11, v43
	v_cmp_gt_i32_e32 vcc, 4, v11
	s_or_b64 s[44:45], vcc, s[44:45]
	v_add_co_u32_e32 v4, vcc, v61, v4
	v_addc_co_u32_e32 v5, vcc, v28, v5, vcc
	s_andn2_b64 exec, exec, s[44:45]
	s_cbranch_execnz .LBB2_859
.LBB2_862:                              ;   in Loop: Header=BB2_761 Depth=3
	s_or_b64 exec, exec, s[42:43]
.LBB2_863:                              ;   in Loop: Header=BB2_761 Depth=3
	s_or_b64 exec, exec, s[34:35]
	s_mov_b64 s[26:27], 0
.LBB2_864:                              ;   in Loop: Header=BB2_761 Depth=3
	s_and_b64 vcc, exec, s[26:27]
	s_cbranch_vccz .LBB2_894
; %bb.865:                              ;   in Loop: Header=BB2_761 Depth=3
	s_mov_b64 s[26:27], -1
	s_and_saveexec_b64 s[28:29], s[20:21]
	s_cbranch_execz .LBB2_867
; %bb.866:                              ;   in Loop: Header=BB2_761 Depth=3
	ds_read_b32 v2, v0 offset:720
	s_waitcnt lgkmcnt(0)
	v_and_b32_e32 v2, 15, v2
	v_cmp_eq_u32_e32 vcc, 0, v2
	s_orn2_b64 s[26:27], vcc, exec
.LBB2_867:                              ;   in Loop: Header=BB2_761 Depth=3
	s_or_b64 exec, exec, s[28:29]
	s_and_saveexec_b64 s[28:29], s[18:19]
	s_cbranch_execz .LBB2_869
; %bb.868:                              ;   in Loop: Header=BB2_761 Depth=3
	ds_read_b32 v2, v0 offset:784
	s_waitcnt lgkmcnt(0)
	v_and_b32_e32 v2, 15, v2
	v_cmp_eq_u32_e32 vcc, 0, v2
	s_and_b64 vcc, s[26:27], vcc
	s_andn2_b64 s[26:27], s[26:27], exec
	s_and_b64 vcc, vcc, exec
	s_or_b64 s[26:27], s[26:27], vcc
.LBB2_869:                              ;   in Loop: Header=BB2_761 Depth=3
	s_or_b64 exec, exec, s[28:29]
	s_xor_b64 s[26:27], s[26:27], -1
	v_cndmask_b32_e64 v2, 0, 1, s[26:27]
	s_mov_b64 s[30:31], -1
	;;#ASMSTART
	;;#ASMEND
	v_cmp_ne_u32_e32 vcc, 0, v2
	v_mov_b32_e32 v8, 0
	s_cbranch_vccz .LBB2_871
; %bb.870:                              ;   in Loop: Header=BB2_761 Depth=3
	v_mov_b32_e32 v9, v44
	v_mov_b32_e32 v4, v57
	s_and_saveexec_b64 s[26:27], s[30:31]
	s_cbranch_execnz .LBB2_884
	s_branch .LBB2_893
.LBB2_871:                              ;   in Loop: Header=BB2_761 Depth=3
	v_ashrrev_i32_e32 v2, 31, v17
	v_lshrrev_b32_e32 v2, 22, v2
	v_add_u32_e32 v2, v17, v2
	v_and_b32_e32 v10, 0xfffffc00, v2
	v_sub_u32_e32 v13, v17, v10
	v_ashrrev_i32_e32 v3, 10, v2
	v_cmp_lt_i32_e32 vcc, 15, v13
	v_accvgpr_read_b32 v2, a25
	v_sub_u32_e32 v8, v17, v58
	v_addc_co_u32_e64 v12, s[26:27], v3, v2, vcc
	v_cmp_lt_i32_e64 s[26:27], 15, v8
	s_and_saveexec_b64 s[28:29], s[26:27]
	s_cbranch_execz .LBB2_875
; %bb.872:                              ;   in Loop: Header=BB2_761 Depth=3
	s_trap 2
	ds_read_b64 v[2:3], v0
	s_mov_b64 s[30:31], 0
	v_pk_mov_b32 v[4:5], v[58:59], v[58:59] op_sel:[0,1]
.LBB2_873:                              ;   Parent Loop BB2_47 Depth=1
                                        ;     Parent Loop BB2_758 Depth=2
                                        ;       Parent Loop BB2_761 Depth=3
                                        ; =>      This Inner Loop Header: Depth=4
	s_waitcnt lgkmcnt(0)
	v_add_co_u32_e64 v26, s[26:27], v2, v4
	v_addc_co_u32_e64 v27, s[26:27], v3, v5, s[26:27]
	global_load_dwordx4 v[22:25], v[26:27], off glc slc
	v_add_co_u32_e64 v4, s[26:27], v4, v0
	v_sub_u32_e32 v8, v8, v42
	v_addc_co_u32_e64 v5, s[26:27], v5, v60, s[26:27]
	v_cmp_gt_i32_e64 s[26:27], 16, v8
	v_sub_u32_e32 v12, v12, v54
	s_or_b64 s[30:31], s[26:27], s[30:31]
	s_waitcnt vmcnt(0)
	global_store_dwordx4 v[26:27], v[22:25], off glc slc
	s_andn2_b64 exec, exec, s[30:31]
	s_cbranch_execnz .LBB2_873
; %bb.874:                              ;   in Loop: Header=BB2_761 Depth=3
	s_or_b64 exec, exec, s[30:31]
	v_accvgpr_read_b32 v27, a23
	v_mov_b32_e32 v26, 1
.LBB2_875:                              ;   in Loop: Header=BB2_761 Depth=3
	s_or_b64 exec, exec, s[28:29]
	v_and_b32_e32 v2, 12, v17
	v_cndmask_b32_e32 v11, v13, v2, vcc
	v_cmp_ne_u32_e64 s[26:27], 0, v11
	s_mov_b64 s[30:31], 0
	v_mov_b32_e32 v8, 0
                                        ; implicit-def: $vgpr17
                                        ; implicit-def: $vgpr9
                                        ; implicit-def: $vgpr4
	s_and_saveexec_b64 s[28:29], s[26:27]
	s_cbranch_execz .LBB2_883
; %bb.876:                              ;   in Loop: Header=BB2_761 Depth=3
	v_sub_u32_e32 v2, v13, v2
	v_cndmask_b32_e32 v2, 0, v2, vcc
	v_cmp_lt_i32_e32 vcc, 0, v12
	v_add_u32_e32 v10, v2, v10
	v_cndmask_b32_e32 v2, 0, v54, vcc
	v_sub_u32_e32 v2, v2, v12
	v_lshl_add_u32 v2, v2, 6, v41
	v_ashrrev_i32_e32 v3, 31, v2
	v_lshrrev_b32_e32 v3, 26, v3
	v_add_u32_e32 v3, v2, v3
	v_ashrrev_i32_e32 v5, 6, v3
	v_and_b32_e32 v3, 0xffffffc0, v3
	v_sub_u32_e32 v12, v2, v3
	v_lshlrev_b32_e32 v2, 4, v12
	v_lshl_add_u32 v4, v5, 10, v2
	v_ashrrev_i32_e32 v2, 31, v11
	v_lshrrev_b32_e32 v2, 22, v2
	v_add_u32_e32 v2, v11, v2
	v_and_b32_e32 v13, 0xfffffc00, v2
	v_sub_u32_e32 v22, v11, v13
	v_ashrrev_i32_e32 v3, 10, v2
	v_cmp_lt_i32_e32 vcc, 15, v22
	v_sub_u32_e32 v8, v11, v4
	v_addc_co_u32_e64 v2, s[26:27], 0, v3, vcc
	v_sub_u32_e32 v21, v2, v5
	v_cmp_lt_i32_e64 s[26:27], 15, v8
	s_and_saveexec_b64 s[30:31], s[26:27]
	s_cbranch_execz .LBB2_880
; %bb.877:                              ;   in Loop: Header=BB2_761 Depth=3
	s_trap 2
	ds_read_b64 v[2:3], v0
	v_add_u32_e32 v4, v4, v10
	v_ashrrev_i32_e32 v5, 31, v4
	s_mov_b64 s[34:35], 0
.LBB2_878:                              ;   Parent Loop BB2_47 Depth=1
                                        ;     Parent Loop BB2_758 Depth=2
                                        ;       Parent Loop BB2_761 Depth=3
                                        ; =>      This Inner Loop Header: Depth=4
	s_waitcnt lgkmcnt(0)
	v_add_co_u32_e64 v38, s[26:27], v2, v4
	v_addc_co_u32_e64 v39, s[26:27], v3, v5, s[26:27]
	global_load_dwordx4 v[24:27], v[38:39], off glc slc
	v_add_co_u32_e64 v4, s[26:27], v4, v0
	v_sub_u32_e32 v8, v8, v42
	v_addc_co_u32_e64 v5, s[26:27], v5, v60, s[26:27]
	v_cmp_gt_i32_e64 s[26:27], 16, v8
	v_sub_u32_e32 v21, v21, v54
	s_or_b64 s[34:35], s[26:27], s[34:35]
	s_waitcnt vmcnt(0)
	global_store_dwordx4 v[38:39], v[24:27], off glc slc
	s_andn2_b64 exec, exec, s[34:35]
	s_cbranch_execnz .LBB2_878
; %bb.879:                              ;   in Loop: Header=BB2_761 Depth=3
	s_or_b64 exec, exec, s[34:35]
	v_accvgpr_read_b32 v39, a13
	v_accvgpr_read_b32 v38, a12
	;; [unrolled: 1-line block ×3, first 2 shown]
	v_mov_b32_e32 v26, 1
.LBB2_880:                              ;   in Loop: Header=BB2_761 Depth=3
	s_or_b64 exec, exec, s[30:31]
	v_and_b32_e32 v2, 12, v11
	v_cndmask_b32_e32 v17, v22, v2, vcc
	v_cmp_ne_u32_e64 s[26:27], 0, v17
	s_mov_b64 s[30:31], 0
	v_mov_b32_e32 v8, 0
                                        ; implicit-def: $vgpr9
                                        ; implicit-def: $vgpr4
	s_and_saveexec_b64 s[34:35], s[26:27]
	s_cbranch_execz .LBB2_882
; %bb.881:                              ;   in Loop: Header=BB2_761 Depth=3
	v_sub_u32_e32 v2, v22, v2
	v_cndmask_b32_e32 v2, 0, v2, vcc
	v_cmp_lt_i32_e32 vcc, 0, v21
	v_add3_u32 v8, v13, v10, v2
	v_cndmask_b32_e32 v2, 0, v54, vcc
	v_sub_u32_e32 v2, v2, v21
	v_lshl_add_u32 v9, v2, 6, v12
	v_ashrrev_i32_e32 v2, 31, v9
	v_lshrrev_b32_e32 v2, 26, v2
	v_add_u32_e32 v2, v9, v2
	s_mov_b64 s[30:31], exec
	v_ashrrev_i32_e32 v4, 6, v2
.LBB2_882:                              ;   in Loop: Header=BB2_761 Depth=3
	s_or_b64 exec, exec, s[34:35]
	s_and_b64 s[30:31], s[30:31], exec
.LBB2_883:                              ;   in Loop: Header=BB2_761 Depth=3
	s_or_b64 exec, exec, s[28:29]
	s_and_saveexec_b64 s[26:27], s[30:31]
	s_cbranch_execz .LBB2_893
.LBB2_884:                              ;   in Loop: Header=BB2_761 Depth=3
	v_ashrrev_i32_e32 v2, 31, v17
	v_lshrrev_b32_e32 v2, 23, v2
	v_add_u32_e32 v2, v17, v2
	v_ashrrev_i32_e32 v12, 9, v2
	v_sub_u32_e32 v10, v12, v4
	v_ashrrev_i32_e32 v2, 31, v9
	v_cmp_lt_i32_e32 vcc, 0, v10
	v_lshrrev_b32_e32 v11, 26, v2
	s_and_saveexec_b64 s[28:29], vcc
	s_cbranch_execz .LBB2_888
; %bb.885:                              ;   in Loop: Header=BB2_761 Depth=3
	v_add_u32_e32 v5, v9, v11
	s_trap 2
	ds_read_b64 v[2:3], v0
	v_and_b32_e32 v5, 0x3fffffc0, v5
	v_sub_u32_e32 v5, v9, v5
	v_lshlrev_b32_e32 v5, 2, v5
	v_lshlrev_b32_e32 v4, 9, v4
	v_add3_u32 v4, v5, v8, v4
	v_ashrrev_i32_e32 v5, 31, v4
	s_mov_b64 s[30:31], 0
.LBB2_886:                              ;   Parent Loop BB2_47 Depth=1
                                        ;     Parent Loop BB2_758 Depth=2
                                        ;       Parent Loop BB2_761 Depth=3
                                        ; =>      This Inner Loop Header: Depth=4
	s_waitcnt lgkmcnt(0)
	v_add_co_u32_e32 v22, vcc, v2, v4
	v_addc_co_u32_e32 v23, vcc, v3, v5, vcc
	flat_load_dword v13, v[22:23] glc slc
	flat_load_dword v21, v[22:23] offset:256 glc slc
	v_add_co_u32_e32 v4, vcc, v4, v31
	v_sub_u32_e32 v10, v10, v54
	v_addc_co_u32_e32 v5, vcc, v5, v1, vcc
	v_cmp_gt_i32_e32 vcc, 1, v10
	s_or_b64 s[30:31], vcc, s[30:31]
	s_waitcnt vmcnt(0) lgkmcnt(0)
	flat_store_dword v[22:23], v13 glc slc
	flat_store_dword v[22:23], v21 offset:256 glc slc
	s_andn2_b64 exec, exec, s[30:31]
	s_cbranch_execnz .LBB2_886
; %bb.887:                              ;   in Loop: Header=BB2_761 Depth=3
	s_or_b64 exec, exec, s[30:31]
.LBB2_888:                              ;   in Loop: Header=BB2_761 Depth=3
	s_or_b64 exec, exec, s[28:29]
	v_lshlrev_b32_e32 v2, 9, v12
	v_cmp_ne_u32_e32 vcc, v17, v2
	s_and_saveexec_b64 s[28:29], vcc
	s_cbranch_execz .LBB2_892
; %bb.889:                              ;   in Loop: Header=BB2_761 Depth=3
	v_add_u32_e32 v3, v9, v11
	v_and_b32_e32 v3, 0xffffffc0, v3
	v_sub_u32_e32 v3, v9, v3
	v_lshlrev_b32_e32 v4, 6, v10
	v_sub_u32_e32 v3, v3, v4
	v_ashrrev_i32_e32 v4, 31, v3
	v_lshrrev_b32_e32 v4, 26, v4
	v_add_u32_e32 v4, v3, v4
	v_and_b32_e32 v5, 0x3fffffc0, v4
	v_sub_u32_e32 v3, v3, v5
	v_lshlrev_b32_e32 v4, 2, v4
	v_and_b32_e32 v4, 0xffffff00, v4
	v_lshlrev_b32_e32 v3, 2, v3
	v_add3_u32 v4, v4, v3, v2
	v_sub_u32_e32 v9, v17, v4
	v_cmp_lt_i32_e32 vcc, 3, v9
	s_and_b64 exec, exec, vcc
	s_cbranch_execz .LBB2_892
; %bb.890:                              ;   in Loop: Header=BB2_761 Depth=3
	s_trap 2
	ds_read_b64 v[2:3], v0
	v_add_u32_e32 v4, v4, v8
	v_ashrrev_i32_e32 v5, 31, v4
	s_mov_b64 s[30:31], 0
.LBB2_891:                              ;   Parent Loop BB2_47 Depth=1
                                        ;     Parent Loop BB2_758 Depth=2
                                        ;       Parent Loop BB2_761 Depth=3
                                        ; =>      This Inner Loop Header: Depth=4
	s_waitcnt lgkmcnt(0)
	v_add_co_u32_e32 v10, vcc, v2, v4
	v_addc_co_u32_e32 v11, vcc, v3, v5, vcc
	flat_load_dword v8, v[10:11] glc slc
	v_add_co_u32_e32 v4, vcc, v4, v61
	v_sub_u32_e32 v9, v9, v43
	v_addc_co_u32_e32 v5, vcc, v5, v28, vcc
	v_cmp_gt_i32_e32 vcc, 4, v9
	s_or_b64 s[30:31], vcc, s[30:31]
	s_waitcnt vmcnt(0) lgkmcnt(0)
	flat_store_dword v[10:11], v8 glc slc
	s_andn2_b64 exec, exec, s[30:31]
	s_cbranch_execnz .LBB2_891
.LBB2_892:                              ;   in Loop: Header=BB2_761 Depth=3
	s_or_b64 exec, exec, s[28:29]
.LBB2_893:                              ;   in Loop: Header=BB2_761 Depth=3
	s_or_b64 exec, exec, s[26:27]
.LBB2_894:                              ;   in Loop: Header=BB2_761 Depth=3
	s_and_saveexec_b64 s[26:27], s[10:11]
	s_cbranch_execz .LBB2_913
; %bb.895:                              ;   in Loop: Header=BB2_761 Depth=3
	s_and_saveexec_b64 s[28:29], s[52:53]
	s_xor_b64 s[28:29], exec, s[28:29]
	s_cbranch_execz .LBB2_910
; %bb.896:                              ;   in Loop: Header=BB2_761 Depth=3
	s_and_saveexec_b64 s[30:31], s[16:17]
	s_cbranch_execz .LBB2_909
; %bb.897:                              ;   in Loop: Header=BB2_761 Depth=3
	s_mov_b64 s[42:43], exec
	v_mbcnt_lo_u32_b32 v2, s42, 0
	v_mbcnt_hi_u32_b32 v2, s43, v2
	v_cmp_eq_u32_e32 vcc, 0, v2
	s_waitcnt vmcnt(0) lgkmcnt(0)
	buffer_wbinvl1_vol
	s_and_saveexec_b64 s[34:35], vcc
	s_cbranch_execz .LBB2_899
; %bb.898:                              ;   in Loop: Header=BB2_761 Depth=3
	s_bcnt1_i32_b64 vcc_lo, s[42:43]
	v_mov_b32_e32 v2, vcc_lo
	v_mov_b32_e32 v3, v52
	ds_add_u64 v0, v[2:3]
	s_trap 2
.LBB2_899:                              ;   in Loop: Header=BB2_761 Depth=3
	s_or_b64 exec, exec, s[34:35]
	s_trap 2
	ds_read_b64 v[2:3], v0
	v_add_co_u32_e32 v48, vcc, v48, v54
	v_addc_co_u32_e32 v49, vcc, 0, v49, vcc
	s_waitcnt lgkmcnt(0)
	v_cmp_lt_u64_e32 vcc, v[2:3], v[48:49]
	s_and_saveexec_b64 s[34:35], vcc
	s_cbranch_execz .LBB2_908
; %bb.900:                              ;   in Loop: Header=BB2_761 Depth=3
	s_mov_b32 s68, 0
	s_mov_b64 s[42:43], 0
                                        ; implicit-def: $sgpr44_sgpr45
                                        ; implicit-def: $sgpr60_sgpr61
	s_branch .LBB2_902
.LBB2_901:                              ;   in Loop: Header=BB2_902 Depth=4
	s_or_b64 exec, exec, s[64:65]
	s_and_b64 vcc, exec, vcc
	s_or_b64 s[42:43], vcc, s[42:43]
	s_andn2_b64 vcc, s[44:45], exec
	s_and_b64 s[44:45], s[60:61], exec
	s_or_b64 s[44:45], vcc, s[44:45]
	s_andn2_b64 exec, exec, s[42:43]
	s_cbranch_execz .LBB2_906
.LBB2_902:                              ;   Parent Loop BB2_47 Depth=1
                                        ;     Parent Loop BB2_758 Depth=2
                                        ;       Parent Loop BB2_761 Depth=3
                                        ; =>      This Inner Loop Header: Depth=4
	s_add_i32 s68, s68, 1
	s_cmpk_lg_i32 s68, 0x2710
	s_cselect_b64 s[62:63], -1, 0
	s_and_b64 vcc, exec, s[62:63]
                                        ; implicit-def: $sgpr64_sgpr65
	s_cbranch_vccnz .LBB2_904
; %bb.903:                              ;   in Loop: Header=BB2_902 Depth=4
	s_trap 2
	ds_read_b64 v[2:3], v0
	s_andn2_b64 s[62:63], s[62:63], exec
	s_mov_b32 s68, 0
	s_mov_b64 s[64:65], -1
	s_waitcnt lgkmcnt(0)
	flat_load_dword v2, v[2:3] glc
	s_waitcnt vmcnt(0) lgkmcnt(0)
	buffer_invl2
	buffer_wbinvl1_vol
	v_cmp_eq_u32_e32 vcc, 0, v2
	s_and_b64 vcc, vcc, exec
	s_or_b64 s[62:63], s[62:63], vcc
.LBB2_904:                              ;   in Loop: Header=BB2_902 Depth=4
	s_andn2_b64 s[60:61], s[60:61], exec
	s_and_b64 s[64:65], s[64:65], exec
	s_mov_b64 vcc, -1
	s_or_b64 s[60:61], s[60:61], s[64:65]
	s_and_saveexec_b64 s[64:65], s[62:63]
	s_cbranch_execz .LBB2_901
; %bb.905:                              ;   in Loop: Header=BB2_902 Depth=4
	s_sleep 1
	s_trap 2
	ds_read_b64 v[2:3], v0
	s_andn2_b64 s[60:61], s[60:61], exec
	s_waitcnt lgkmcnt(0)
	v_cmp_ge_u64_e32 vcc, v[2:3], v[48:49]
	s_orn2_b64 vcc, vcc, exec
	s_branch .LBB2_901
.LBB2_906:                              ;   in Loop: Header=BB2_761 Depth=3
	s_or_b64 exec, exec, s[42:43]
	s_and_saveexec_b64 vcc, s[44:45]
	s_xor_b64 vcc, exec, vcc
	s_cbranch_execz .LBB2_908
; %bb.907:                              ;   in Loop: Header=BB2_761 Depth=3
	ds_write_b32 v0, v26
	s_trap 2
.LBB2_908:                              ;   in Loop: Header=BB2_761 Depth=3
	s_or_b64 exec, exec, s[34:35]
	;;#ASMSTART
	s_wakeup
	;;#ASMEND
.LBB2_909:                              ;   in Loop: Header=BB2_761 Depth=3
	s_or_b64 exec, exec, s[30:31]
.LBB2_910:                              ;   in Loop: Header=BB2_761 Depth=3
	s_andn2_saveexec_b64 s[28:29], s[28:29]
	s_cbranch_execz .LBB2_912
; %bb.911:                              ;   in Loop: Header=BB2_761 Depth=3
	s_waitcnt vmcnt(0) lgkmcnt(0)
	buffer_wbinvl1_vol
	s_barrier
.LBB2_912:                              ;   in Loop: Header=BB2_761 Depth=3
	s_or_b64 exec, exec, s[28:29]
.LBB2_913:                              ;   in Loop: Header=BB2_761 Depth=3
	s_or_b64 exec, exec, s[26:27]
                                        ; implicit-def: $vgpr2
	s_and_saveexec_b64 s[26:27], s[24:25]
	s_xor_b64 s[28:29], exec, s[26:27]
	s_cbranch_execz .LBB2_917
; %bb.914:                              ;   in Loop: Header=BB2_761 Depth=3
	v_and_b32_e32 v3, 16, v62
	v_cmp_lt_i32_e32 vcc, 0, v15
	v_cmp_ne_u32_e64 s[26:27], 0, v3
	v_and_b32_e32 v2, 16, v62
	s_and_b64 vcc, s[26:27], vcc
	s_and_saveexec_b64 s[26:27], vcc
	s_cbranch_execz .LBB2_916
; %bb.915:                              ;   in Loop: Header=BB2_761 Depth=3
	v_mov_b32_e32 v2, 1
	s_waitcnt vmcnt(0) lgkmcnt(0)
	buffer_wbinvl1_vol
.LBB2_916:                              ;   in Loop: Header=BB2_761 Depth=3
	s_or_b64 exec, exec, s[26:27]
	s_andn2_saveexec_b64 s[26:27], s[28:29]
	s_cbranch_execz .LBB2_936
	s_branch .LBB2_918
.LBB2_917:                              ;   in Loop: Header=BB2_761 Depth=3
	s_andn2_saveexec_b64 s[26:27], s[28:29]
	s_cbranch_execz .LBB2_936
.LBB2_918:                              ;   in Loop: Header=BB2_761 Depth=3
	s_and_saveexec_b64 s[28:29], s[52:53]
	s_xor_b64 s[28:29], exec, s[28:29]
	s_cbranch_execz .LBB2_933
; %bb.919:                              ;   in Loop: Header=BB2_761 Depth=3
	s_and_saveexec_b64 s[30:31], s[16:17]
	s_cbranch_execz .LBB2_932
; %bb.920:                              ;   in Loop: Header=BB2_761 Depth=3
	s_mov_b64 s[42:43], exec
	v_mbcnt_lo_u32_b32 v2, s42, 0
	v_mbcnt_hi_u32_b32 v2, s43, v2
	v_cmp_eq_u32_e32 vcc, 0, v2
	;;#ASMSTART
	s_waitcnt lgkmcnt(0) vmcnt(0)
	;;#ASMEND
	s_and_saveexec_b64 s[34:35], vcc
	s_cbranch_execz .LBB2_922
; %bb.921:                              ;   in Loop: Header=BB2_761 Depth=3
	s_bcnt1_i32_b64 vcc_lo, s[42:43]
	v_mov_b32_e32 v2, vcc_lo
	v_mov_b32_e32 v3, v52
	ds_add_u64 v0, v[2:3]
	s_trap 2
.LBB2_922:                              ;   in Loop: Header=BB2_761 Depth=3
	s_or_b64 exec, exec, s[34:35]
	s_trap 2
	ds_read_b64 v[2:3], v0
	v_add_co_u32_e32 v48, vcc, v48, v54
	v_addc_co_u32_e32 v49, vcc, 0, v49, vcc
	s_waitcnt lgkmcnt(0)
	v_cmp_lt_u64_e32 vcc, v[2:3], v[48:49]
	s_and_saveexec_b64 s[34:35], vcc
	s_cbranch_execz .LBB2_931
; %bb.923:                              ;   in Loop: Header=BB2_761 Depth=3
	s_mov_b32 s68, 0
	s_mov_b64 s[42:43], 0
                                        ; implicit-def: $sgpr44_sgpr45
                                        ; implicit-def: $sgpr60_sgpr61
	s_branch .LBB2_925
.LBB2_924:                              ;   in Loop: Header=BB2_925 Depth=4
	s_or_b64 exec, exec, s[64:65]
	s_and_b64 vcc, exec, vcc
	s_or_b64 s[42:43], vcc, s[42:43]
	s_andn2_b64 vcc, s[44:45], exec
	s_and_b64 s[44:45], s[60:61], exec
	s_or_b64 s[44:45], vcc, s[44:45]
	s_andn2_b64 exec, exec, s[42:43]
	s_cbranch_execz .LBB2_929
.LBB2_925:                              ;   Parent Loop BB2_47 Depth=1
                                        ;     Parent Loop BB2_758 Depth=2
                                        ;       Parent Loop BB2_761 Depth=3
                                        ; =>      This Inner Loop Header: Depth=4
	s_add_i32 s68, s68, 1
	s_cmpk_lg_i32 s68, 0x2710
	s_cselect_b64 s[62:63], -1, 0
	s_and_b64 vcc, exec, s[62:63]
                                        ; implicit-def: $sgpr64_sgpr65
	s_cbranch_vccnz .LBB2_927
; %bb.926:                              ;   in Loop: Header=BB2_925 Depth=4
	s_trap 2
	ds_read_b64 v[2:3], v0
	s_andn2_b64 s[62:63], s[62:63], exec
	s_mov_b32 s68, 0
	s_mov_b64 s[64:65], -1
	s_waitcnt vmcnt(0) lgkmcnt(0)
	flat_load_dword v2, v[2:3] glc
	s_waitcnt vmcnt(0) lgkmcnt(0)
	buffer_invl2
	buffer_wbinvl1_vol
	v_cmp_eq_u32_e32 vcc, 0, v2
	s_and_b64 vcc, vcc, exec
	s_or_b64 s[62:63], s[62:63], vcc
.LBB2_927:                              ;   in Loop: Header=BB2_925 Depth=4
	s_andn2_b64 s[60:61], s[60:61], exec
	s_and_b64 s[64:65], s[64:65], exec
	s_mov_b64 vcc, -1
	s_or_b64 s[60:61], s[60:61], s[64:65]
	s_and_saveexec_b64 s[64:65], s[62:63]
	s_cbranch_execz .LBB2_924
; %bb.928:                              ;   in Loop: Header=BB2_925 Depth=4
	s_sleep 1
	s_trap 2
	ds_read_b64 v[2:3], v0
	s_andn2_b64 s[60:61], s[60:61], exec
	s_waitcnt lgkmcnt(0)
	v_cmp_ge_u64_e32 vcc, v[2:3], v[48:49]
	s_orn2_b64 vcc, vcc, exec
	s_branch .LBB2_924
.LBB2_929:                              ;   in Loop: Header=BB2_761 Depth=3
	s_or_b64 exec, exec, s[42:43]
	s_and_saveexec_b64 vcc, s[44:45]
	s_xor_b64 vcc, exec, vcc
	s_cbranch_execz .LBB2_931
; %bb.930:                              ;   in Loop: Header=BB2_761 Depth=3
	ds_write_b32 v0, v26
	s_trap 2
.LBB2_931:                              ;   in Loop: Header=BB2_761 Depth=3
	s_or_b64 exec, exec, s[34:35]
	;;#ASMSTART
	s_wakeup
	;;#ASMEND
.LBB2_932:                              ;   in Loop: Header=BB2_761 Depth=3
	s_or_b64 exec, exec, s[30:31]
.LBB2_933:                              ;   in Loop: Header=BB2_761 Depth=3
	s_andn2_saveexec_b64 s[28:29], s[28:29]
	s_cbranch_execz .LBB2_935
; %bb.934:                              ;   in Loop: Header=BB2_761 Depth=3
	;;#ASMSTART
	s_waitcnt lgkmcnt(0) vmcnt(0)
	;;#ASMEND
	s_barrier
.LBB2_935:                              ;   in Loop: Header=BB2_761 Depth=3
	s_or_b64 exec, exec, s[28:29]
	v_and_b32_e32 v2, 16, v62
.LBB2_936:                              ;   in Loop: Header=BB2_761 Depth=3
	s_or_b64 exec, exec, s[26:27]
	v_cmp_ne_u32_e32 vcc, 0, v2
	s_xor_b64 s[26:27], s[12:13], -1
	s_and_b64 s[28:29], vcc, s[26:27]
	s_and_saveexec_b64 s[26:27], s[28:29]
	s_cbranch_execz .LBB2_938
; %bb.937:                              ;   in Loop: Header=BB2_761 Depth=3
	flat_store_dword v[46:47], v26
.LBB2_938:                              ;   in Loop: Header=BB2_761 Depth=3
	s_or_b64 exec, exec, s[26:27]
	v_and_b32_e32 v2, 48, v62
	v_cmp_ne_u32_e32 vcc, 0, v2
	s_and_saveexec_b64 s[26:27], vcc
	s_cbranch_execz .LBB2_760
; %bb.939:                              ;   in Loop: Header=BB2_761 Depth=3
	v_add_co_u32_e32 v32, vcc, 2, v32
	v_addc_co_u32_e32 v33, vcc, 0, v33, vcc
	flat_store_dwordx2 v[34:35], v[32:33]
	s_branch .LBB2_760
.LBB2_940:                              ;   in Loop: Header=BB2_758 Depth=2
	s_or_b64 exec, exec, s[36:37]
	v_cmp_gt_i32_e32 vcc, 2, v4
	s_and_saveexec_b64 s[28:29], vcc
	s_cbranch_execz .LBB2_1016
.LBB2_941:                              ;   in Loop: Header=BB2_758 Depth=2
	v_cmp_eq_u32_e64 s[26:27], 0, v4
	s_mov_b64 s[30:31], 0
	s_branch .LBB2_943
.LBB2_942:                              ;   in Loop: Header=BB2_943 Depth=3
	s_or_b64 exec, exec, s[26:27]
	v_add_u32_e32 v16, v14, v16
	s_mov_b64 s[26:27], 0
	s_andn2_b64 exec, exec, s[30:31]
	s_cbranch_execz .LBB2_1017
.LBB2_943:                              ;   Parent Loop BB2_47 Depth=1
                                        ;     Parent Loop BB2_758 Depth=2
                                        ; =>    This Loop Header: Depth=3
                                        ;         Child Loop BB2_949 Depth 4
                                        ;         Child Loop BB2_981 Depth 4
	;; [unrolled: 1-line block ×3, first 2 shown]
	v_and_b32_e32 v2, 12, v62
	s_mov_b64 s[36:37], -1
	v_cmp_ne_u32_e32 vcc, 0, v2
	s_and_saveexec_b64 s[34:35], vcc
	s_cbranch_execz .LBB2_955
; %bb.944:                              ;   in Loop: Header=BB2_943 Depth=3
	v_and_b32_e32 v2, 8, v62
	v_add_co_u32_e32 v8, vcc, v50, v2
	v_addc_co_u32_e32 v9, vcc, 0, v51, vcc
	v_add_co_u32_e32 v4, vcc, 2, v32
	v_addc_co_u32_e32 v5, vcc, 0, v33, vcc
	v_cmp_lt_u64_e32 vcc, v[8:9], v[4:5]
	v_mov_b32_e32 v3, 1
	s_and_saveexec_b64 s[36:37], vcc
	s_cbranch_execz .LBB2_954
; %bb.945:                              ;   in Loop: Header=BB2_943 Depth=3
	s_mov_b64 s[38:39], 0
	v_mov_b32_e32 v3, 0
                                        ; implicit-def: $sgpr40_sgpr41
	s_branch .LBB2_949
.LBB2_946:                              ;   in Loop: Header=BB2_949 Depth=4
	s_or_b64 exec, exec, s[62:63]
	v_mov_b32_e32 v8, 0
	s_orn2_b64 s[60:61], s[60:61], exec
.LBB2_947:                              ;   in Loop: Header=BB2_949 Depth=4
	s_or_b64 exec, exec, s[44:45]
	s_andn2_b64 vcc, s[40:41], exec
	s_and_b64 s[40:41], s[60:61], exec
	s_or_b64 s[40:41], vcc, s[40:41]
	v_mov_b32_e32 v3, v8
.LBB2_948:                              ;   in Loop: Header=BB2_949 Depth=4
	s_or_b64 exec, exec, s[42:43]
	s_waitcnt vmcnt(0) lgkmcnt(0)
	v_add_co_u32_e32 v8, vcc, v50, v2
	v_addc_co_u32_e32 v9, vcc, 0, v51, vcc
	v_cmp_ge_u64_e32 vcc, v[8:9], v[4:5]
	s_xor_b64 s[42:43], s[40:41], -1
	s_or_b64 vcc, s[42:43], vcc
	s_and_b64 vcc, exec, vcc
	s_or_b64 s[38:39], vcc, s[38:39]
	s_andn2_b64 exec, exec, s[38:39]
	s_cbranch_execz .LBB2_953
.LBB2_949:                              ;   Parent Loop BB2_47 Depth=1
                                        ;     Parent Loop BB2_758 Depth=2
                                        ;       Parent Loop BB2_943 Depth=3
                                        ; =>      This Inner Loop Header: Depth=4
	s_sleep 1
	flat_load_dwordx2 v[50:51], v[34:35] glc
	v_and_b32_e32 v8, 64, v62
	v_cmp_eq_u32_e32 vcc, 0, v8
	s_andn2_b64 s[40:41], s[40:41], exec
	s_and_saveexec_b64 s[42:43], vcc
	s_cbranch_execz .LBB2_948
; %bb.950:                              ;   in Loop: Header=BB2_949 Depth=4
	v_add_u32_e32 v8, 1, v3
	v_cmp_lt_i32_e32 vcc, s83, v3
	s_mov_b64 s[60:61], -1
	s_and_saveexec_b64 s[44:45], vcc
	s_cbranch_execz .LBB2_947
; %bb.951:                              ;   in Loop: Header=BB2_949 Depth=4
	s_trap 2
	ds_read_b64 v[8:9], v0
	s_waitcnt vmcnt(0) lgkmcnt(0)
	flat_load_dword v3, v[8:9] glc
	s_waitcnt vmcnt(0) lgkmcnt(0)
	buffer_invl2
	buffer_wbinvl1_vol
	v_cmp_ne_u32_e32 vcc, 0, v3
	s_and_saveexec_b64 s[62:63], vcc
	s_cbranch_execz .LBB2_946
; %bb.952:                              ;   in Loop: Header=BB2_949 Depth=4
	v_or_b32_e32 v62, 64, v62
	s_xor_b64 s[60:61], exec, -1
	ds_write_b32 v0, v3
	s_trap 2
	s_branch .LBB2_946
.LBB2_953:                              ;   in Loop: Header=BB2_943 Depth=3
	s_or_b64 exec, exec, s[38:39]
	v_and_b32_e32 v3, 12, v62
.LBB2_954:                              ;   in Loop: Header=BB2_943 Depth=3
	s_or_b64 exec, exec, s[36:37]
	v_cmp_eq_u32_e32 vcc, 0, v3
	s_orn2_b64 s[36:37], vcc, exec
	;;#ASMSTART
	s_wakeup
	;;#ASMEND
.LBB2_955:                              ;   in Loop: Header=BB2_943 Depth=3
	s_or_b64 exec, exec, s[34:35]
	s_xor_b64 s[26:27], s[26:27], -1
	s_and_b64 s[26:27], exec, s[26:27]
	s_or_b64 s[30:31], s[26:27], s[30:31]
	v_sub_u32_e32 v2, v20, v16
	s_xor_b64 s[26:27], s[36:37], -1
	v_min_i32_e32 v14, v14, v2
	s_and_saveexec_b64 s[34:35], s[26:27]
	s_cbranch_execz .LBB2_973
; %bb.956:                              ;   in Loop: Header=BB2_943 Depth=3
	v_and_b32_e32 v2, 0x108, v62
	v_cmp_ne_u32_e32 vcc, s84, v2
	v_and_b32_e32 v2, 7, v32
	s_and_saveexec_b64 s[26:27], vcc
	s_xor_b64 s[26:27], exec, s[26:27]
                                        ; implicit-def: $vgpr4_vgpr5
; %bb.957:                              ;   in Loop: Header=BB2_943 Depth=3
	v_mov_b32_e32 v5, v52
; %bb.958:                              ;   in Loop: Header=BB2_943 Depth=3
	s_andn2_saveexec_b64 s[26:27], s[26:27]
	s_cbranch_execz .LBB2_960
; %bb.959:                              ;   in Loop: Header=BB2_943 Depth=3
	v_ashrrev_i32_e32 v15, 31, v14
	v_mov_b32_e32 v5, v52
	v_mad_u64_u32 v[8:9], vcc, v2, 24, v[38:39]
	v_lshlrev_b64 v[10:11], 2, v[14:15]
	flat_store_dwordx2 v[8:9], v[10:11] offset:8
.LBB2_960:                              ;   in Loop: Header=BB2_943 Depth=3
	s_or_b64 exec, exec, s[26:27]
	v_and_b32_e32 v3, 0x100, v62
	v_cmp_ne_u32_e32 vcc, 0, v3
	s_mov_b64 s[26:27], -1
                                        ; implicit-def: $vgpr8_vgpr9
	s_and_saveexec_b64 s[36:37], vcc
	s_cbranch_execz .LBB2_964
; %bb.961:                              ;   in Loop: Header=BB2_943 Depth=3
	v_mad_u64_u32 v[10:11], s[26:27], v2, 24, v[38:39]
	v_mov_b32_e32 v4, v11
	v_mad_u64_u32 v[8:9], s[26:27], v5, 24, v[4:5]
	v_mov_b32_e32 v11, v8
	flat_load_dword v3, v[10:11]
                                        ; implicit-def: $vgpr8_vgpr9
	s_waitcnt vmcnt(0) lgkmcnt(0)
	v_cmp_ne_u32_e32 vcc, 1, v3
	v_cmp_eq_u32_e64 s[26:27], 1, v3
	s_and_saveexec_b64 s[38:39], s[26:27]
	s_cbranch_execz .LBB2_963
; %bb.962:                              ;   in Loop: Header=BB2_943 Depth=3
	flat_load_dword v8, v[10:11] offset:4 glc
	s_waitcnt vmcnt(0) lgkmcnt(0)
	v_ashrrev_i32_e32 v9, 31, v8
	v_lshrrev_b64 v[8:9], 2, v[8:9]
.LBB2_963:                              ;   in Loop: Header=BB2_943 Depth=3
	s_or_b64 exec, exec, s[38:39]
	s_orn2_b64 s[26:27], vcc, exec
.LBB2_964:                              ;   in Loop: Header=BB2_943 Depth=3
	s_or_b64 exec, exec, s[36:37]
	s_and_saveexec_b64 vcc, s[26:27]
; %bb.965:                              ;   in Loop: Header=BB2_943 Depth=3
	v_mul_lo_u32 v3, v5, v30
	v_mul_lo_u32 v4, v2, v45
	v_mad_u64_u32 v[8:9], s[26:27], v2, v30, 0
	v_add3_u32 v9, v9, v4, v3
; %bb.966:                              ;   in Loop: Header=BB2_943 Depth=3
	s_or_b64 exec, exec, vcc
	v_lshlrev_b64 v[2:3], 2, v[8:9]
	v_add_co_u32_e32 v2, vcc, v36, v2
	v_addc_co_u32_e32 v3, vcc, v37, v3, vcc
	s_trap 2
	ds_write_b64 v0, v[2:3]
	v_and_b32_e32 v2, 0x2000, v62
	v_cmp_ne_u32_e32 vcc, 0, v2
	s_and_saveexec_b64 s[26:27], vcc
	s_cbranch_execz .LBB2_968
; %bb.967:                              ;   in Loop: Header=BB2_943 Depth=3
	ds_read_b64 v[2:3], v0 offset:584
	s_waitcnt lgkmcnt(0)
	v_add_co_u32_e32 v2, vcc, 1, v2
	v_addc_co_u32_e32 v3, vcc, 0, v3, vcc
	ds_write_b64 v0, v[2:3] offset:584
.LBB2_968:                              ;   in Loop: Header=BB2_943 Depth=3
	s_or_b64 exec, exec, s[26:27]
	v_add_co_u32_e32 v32, vcc, 2, v32
	v_addc_co_u32_e32 v33, vcc, 0, v33, vcc
	s_or_b64 exec, exec, s[34:35]
	s_and_saveexec_b64 s[26:27], s[10:11]
	s_cbranch_execnz .LBB2_974
.LBB2_969:                              ;   in Loop: Header=BB2_943 Depth=3
	s_or_b64 exec, exec, s[26:27]
                                        ; implicit-def: $vgpr2
	s_and_saveexec_b64 s[26:27], s[24:25]
	s_xor_b64 s[26:27], exec, s[26:27]
	s_cbranch_execz .LBB2_992
.LBB2_970:                              ;   in Loop: Header=BB2_943 Depth=3
	s_trap 2
	ds_read_b32 v3, v0
	v_cmp_lt_i32_e32 vcc, 0, v14
	v_and_b32_e32 v4, 16, v62
	v_and_b32_e32 v2, 16, v62
	s_waitcnt lgkmcnt(0)
	v_readfirstlane_b32 s34, v3
	s_cmp_eq_u32 s34, 0
	s_cselect_b64 s[34:35], -1, 0
	s_and_b64 s[34:35], vcc, s[34:35]
	v_cmp_ne_u32_e32 vcc, 0, v4
	s_and_b64 s[34:35], vcc, s[34:35]
	s_and_saveexec_b64 vcc, s[34:35]
	s_cbranch_execz .LBB2_972
; %bb.971:                              ;   in Loop: Header=BB2_943 Depth=3
	v_mov_b32_e32 v2, 1
	s_waitcnt vmcnt(0)
	buffer_wbinvl1_vol
.LBB2_972:                              ;   in Loop: Header=BB2_943 Depth=3
	s_or_b64 exec, exec, vcc
	s_andn2_saveexec_b64 s[26:27], s[26:27]
	s_cbranch_execz .LBB2_1011
	s_branch .LBB2_993
.LBB2_973:                              ;   in Loop: Header=BB2_943 Depth=3
	s_or_b64 exec, exec, s[34:35]
	s_and_saveexec_b64 s[26:27], s[10:11]
	s_cbranch_execz .LBB2_969
.LBB2_974:                              ;   in Loop: Header=BB2_943 Depth=3
	s_and_saveexec_b64 vcc, s[52:53]
	s_xor_b64 s[34:35], exec, vcc
	s_cbranch_execz .LBB2_989
; %bb.975:                              ;   in Loop: Header=BB2_943 Depth=3
	s_and_saveexec_b64 s[36:37], s[16:17]
	s_cbranch_execz .LBB2_988
; %bb.976:                              ;   in Loop: Header=BB2_943 Depth=3
	s_mov_b64 s[40:41], exec
	v_mbcnt_lo_u32_b32 v2, s40, 0
	v_mbcnt_hi_u32_b32 v2, s41, v2
	v_cmp_eq_u32_e32 vcc, 0, v2
	s_waitcnt vmcnt(0) lgkmcnt(0)
	buffer_wbinvl1_vol
	s_and_saveexec_b64 s[38:39], vcc
	s_cbranch_execz .LBB2_978
; %bb.977:                              ;   in Loop: Header=BB2_943 Depth=3
	s_bcnt1_i32_b64 vcc_lo, s[40:41]
	v_mov_b32_e32 v2, vcc_lo
	v_mov_b32_e32 v3, v52
	ds_add_u64 v0, v[2:3]
	s_trap 2
.LBB2_978:                              ;   in Loop: Header=BB2_943 Depth=3
	s_or_b64 exec, exec, s[38:39]
	s_trap 2
	ds_read_b64 v[2:3], v0
	v_add_co_u32_e32 v48, vcc, v48, v54
	v_addc_co_u32_e32 v49, vcc, 0, v49, vcc
	s_waitcnt lgkmcnt(0)
	v_cmp_lt_u64_e32 vcc, v[2:3], v[48:49]
	s_and_saveexec_b64 s[38:39], vcc
	s_cbranch_execz .LBB2_987
; %bb.979:                              ;   in Loop: Header=BB2_943 Depth=3
	s_mov_b32 s64, 0
	s_mov_b64 s[40:41], 0
                                        ; implicit-def: $sgpr42_sgpr43
                                        ; implicit-def: $sgpr44_sgpr45
	s_branch .LBB2_981
.LBB2_980:                              ;   in Loop: Header=BB2_981 Depth=4
	s_or_b64 exec, exec, s[62:63]
	s_and_b64 vcc, exec, vcc
	s_or_b64 s[40:41], vcc, s[40:41]
	s_andn2_b64 vcc, s[42:43], exec
	s_and_b64 s[42:43], s[44:45], exec
	s_or_b64 s[42:43], vcc, s[42:43]
	s_andn2_b64 exec, exec, s[40:41]
	s_cbranch_execz .LBB2_985
.LBB2_981:                              ;   Parent Loop BB2_47 Depth=1
                                        ;     Parent Loop BB2_758 Depth=2
                                        ;       Parent Loop BB2_943 Depth=3
                                        ; =>      This Inner Loop Header: Depth=4
	s_add_i32 s64, s64, 1
	s_cmpk_lg_i32 s64, 0x2710
	s_cselect_b64 s[60:61], -1, 0
	s_and_b64 vcc, exec, s[60:61]
                                        ; implicit-def: $sgpr62_sgpr63
	s_cbranch_vccnz .LBB2_983
; %bb.982:                              ;   in Loop: Header=BB2_981 Depth=4
	s_trap 2
	ds_read_b64 v[2:3], v0
	s_andn2_b64 s[60:61], s[60:61], exec
	s_mov_b32 s64, 0
	s_mov_b64 s[62:63], -1
	s_waitcnt lgkmcnt(0)
	flat_load_dword v2, v[2:3] glc
	s_waitcnt vmcnt(0) lgkmcnt(0)
	buffer_invl2
	buffer_wbinvl1_vol
	v_cmp_eq_u32_e32 vcc, 0, v2
	s_and_b64 vcc, vcc, exec
	s_or_b64 s[60:61], s[60:61], vcc
.LBB2_983:                              ;   in Loop: Header=BB2_981 Depth=4
	s_andn2_b64 s[44:45], s[44:45], exec
	s_and_b64 s[62:63], s[62:63], exec
	s_mov_b64 vcc, -1
	s_or_b64 s[44:45], s[44:45], s[62:63]
	s_and_saveexec_b64 s[62:63], s[60:61]
	s_cbranch_execz .LBB2_980
; %bb.984:                              ;   in Loop: Header=BB2_981 Depth=4
	s_sleep 1
	s_trap 2
	ds_read_b64 v[2:3], v0
	s_andn2_b64 s[44:45], s[44:45], exec
	s_waitcnt lgkmcnt(0)
	v_cmp_ge_u64_e32 vcc, v[2:3], v[48:49]
	s_orn2_b64 vcc, vcc, exec
	s_branch .LBB2_980
.LBB2_985:                              ;   in Loop: Header=BB2_943 Depth=3
	s_or_b64 exec, exec, s[40:41]
	s_and_saveexec_b64 vcc, s[42:43]
	s_xor_b64 vcc, exec, vcc
	s_cbranch_execz .LBB2_987
; %bb.986:                              ;   in Loop: Header=BB2_943 Depth=3
	ds_write_b32 v0, v26
	s_trap 2
.LBB2_987:                              ;   in Loop: Header=BB2_943 Depth=3
	s_or_b64 exec, exec, s[38:39]
	;;#ASMSTART
	s_wakeup
	;;#ASMEND
.LBB2_988:                              ;   in Loop: Header=BB2_943 Depth=3
	s_or_b64 exec, exec, s[36:37]
.LBB2_989:                              ;   in Loop: Header=BB2_943 Depth=3
	s_andn2_saveexec_b64 vcc, s[34:35]
	s_cbranch_execz .LBB2_991
; %bb.990:                              ;   in Loop: Header=BB2_943 Depth=3
	s_waitcnt vmcnt(0) lgkmcnt(0)
	buffer_wbinvl1_vol
	s_barrier
.LBB2_991:                              ;   in Loop: Header=BB2_943 Depth=3
	s_or_b64 exec, exec, vcc
	s_or_b64 exec, exec, s[26:27]
                                        ; implicit-def: $vgpr2
	s_and_saveexec_b64 s[26:27], s[24:25]
	s_xor_b64 s[26:27], exec, s[26:27]
	s_cbranch_execnz .LBB2_970
.LBB2_992:                              ;   in Loop: Header=BB2_943 Depth=3
	s_andn2_saveexec_b64 s[26:27], s[26:27]
	s_cbranch_execz .LBB2_1011
.LBB2_993:                              ;   in Loop: Header=BB2_943 Depth=3
	s_and_saveexec_b64 vcc, s[52:53]
	s_xor_b64 s[34:35], exec, vcc
	s_cbranch_execz .LBB2_1008
; %bb.994:                              ;   in Loop: Header=BB2_943 Depth=3
	s_and_saveexec_b64 s[36:37], s[16:17]
	s_cbranch_execz .LBB2_1007
; %bb.995:                              ;   in Loop: Header=BB2_943 Depth=3
	s_mov_b64 s[40:41], exec
	v_mbcnt_lo_u32_b32 v2, s40, 0
	v_mbcnt_hi_u32_b32 v2, s41, v2
	v_cmp_eq_u32_e32 vcc, 0, v2
	;;#ASMSTART
	s_waitcnt lgkmcnt(0) vmcnt(0)
	;;#ASMEND
	s_and_saveexec_b64 s[38:39], vcc
	s_cbranch_execz .LBB2_997
; %bb.996:                              ;   in Loop: Header=BB2_943 Depth=3
	s_bcnt1_i32_b64 vcc_lo, s[40:41]
	v_mov_b32_e32 v2, vcc_lo
	v_mov_b32_e32 v3, v52
	ds_add_u64 v0, v[2:3]
	s_trap 2
.LBB2_997:                              ;   in Loop: Header=BB2_943 Depth=3
	s_or_b64 exec, exec, s[38:39]
	s_trap 2
	ds_read_b64 v[2:3], v0
	v_add_co_u32_e32 v48, vcc, v48, v54
	v_addc_co_u32_e32 v49, vcc, 0, v49, vcc
	s_waitcnt lgkmcnt(0)
	v_cmp_lt_u64_e32 vcc, v[2:3], v[48:49]
	s_and_saveexec_b64 s[38:39], vcc
	s_cbranch_execz .LBB2_1006
; %bb.998:                              ;   in Loop: Header=BB2_943 Depth=3
	s_mov_b32 s64, 0
	s_mov_b64 s[40:41], 0
                                        ; implicit-def: $sgpr42_sgpr43
                                        ; implicit-def: $sgpr44_sgpr45
	s_branch .LBB2_1000
.LBB2_999:                              ;   in Loop: Header=BB2_1000 Depth=4
	s_or_b64 exec, exec, s[62:63]
	s_and_b64 vcc, exec, vcc
	s_or_b64 s[40:41], vcc, s[40:41]
	s_andn2_b64 vcc, s[42:43], exec
	s_and_b64 s[42:43], s[44:45], exec
	s_or_b64 s[42:43], vcc, s[42:43]
	s_andn2_b64 exec, exec, s[40:41]
	s_cbranch_execz .LBB2_1004
.LBB2_1000:                             ;   Parent Loop BB2_47 Depth=1
                                        ;     Parent Loop BB2_758 Depth=2
                                        ;       Parent Loop BB2_943 Depth=3
                                        ; =>      This Inner Loop Header: Depth=4
	s_add_i32 s64, s64, 1
	s_cmpk_lg_i32 s64, 0x2710
	s_cselect_b64 s[60:61], -1, 0
	s_and_b64 vcc, exec, s[60:61]
                                        ; implicit-def: $sgpr62_sgpr63
	s_cbranch_vccnz .LBB2_1002
; %bb.1001:                             ;   in Loop: Header=BB2_1000 Depth=4
	s_trap 2
	ds_read_b64 v[2:3], v0
	s_andn2_b64 s[60:61], s[60:61], exec
	s_mov_b32 s64, 0
	s_mov_b64 s[62:63], -1
	s_waitcnt vmcnt(0) lgkmcnt(0)
	flat_load_dword v2, v[2:3] glc
	s_waitcnt vmcnt(0) lgkmcnt(0)
	buffer_invl2
	buffer_wbinvl1_vol
	v_cmp_eq_u32_e32 vcc, 0, v2
	s_and_b64 vcc, vcc, exec
	s_or_b64 s[60:61], s[60:61], vcc
.LBB2_1002:                             ;   in Loop: Header=BB2_1000 Depth=4
	s_andn2_b64 s[44:45], s[44:45], exec
	s_and_b64 s[62:63], s[62:63], exec
	s_mov_b64 vcc, -1
	s_or_b64 s[44:45], s[44:45], s[62:63]
	s_and_saveexec_b64 s[62:63], s[60:61]
	s_cbranch_execz .LBB2_999
; %bb.1003:                             ;   in Loop: Header=BB2_1000 Depth=4
	s_sleep 1
	s_trap 2
	ds_read_b64 v[2:3], v0
	s_andn2_b64 s[44:45], s[44:45], exec
	s_waitcnt lgkmcnt(0)
	v_cmp_ge_u64_e32 vcc, v[2:3], v[48:49]
	s_orn2_b64 vcc, vcc, exec
	s_branch .LBB2_999
.LBB2_1004:                             ;   in Loop: Header=BB2_943 Depth=3
	s_or_b64 exec, exec, s[40:41]
	s_and_saveexec_b64 vcc, s[42:43]
	s_xor_b64 vcc, exec, vcc
	s_cbranch_execz .LBB2_1006
; %bb.1005:                             ;   in Loop: Header=BB2_943 Depth=3
	ds_write_b32 v0, v26
	s_trap 2
.LBB2_1006:                             ;   in Loop: Header=BB2_943 Depth=3
	s_or_b64 exec, exec, s[38:39]
	;;#ASMSTART
	s_wakeup
	;;#ASMEND
.LBB2_1007:                             ;   in Loop: Header=BB2_943 Depth=3
	s_or_b64 exec, exec, s[36:37]
.LBB2_1008:                             ;   in Loop: Header=BB2_943 Depth=3
	s_andn2_saveexec_b64 vcc, s[34:35]
	s_cbranch_execz .LBB2_1010
; %bb.1009:                             ;   in Loop: Header=BB2_943 Depth=3
	;;#ASMSTART
	s_waitcnt lgkmcnt(0) vmcnt(0)
	;;#ASMEND
	s_barrier
.LBB2_1010:                             ;   in Loop: Header=BB2_943 Depth=3
	s_or_b64 exec, exec, vcc
	v_and_b32_e32 v2, 16, v62
.LBB2_1011:                             ;   in Loop: Header=BB2_943 Depth=3
	s_or_b64 exec, exec, s[26:27]
	v_cmp_ne_u32_e32 vcc, 0, v2
	s_xor_b64 s[26:27], s[12:13], -1
	s_and_b64 vcc, vcc, s[26:27]
	s_and_saveexec_b64 s[26:27], vcc
	s_cbranch_execz .LBB2_1013
; %bb.1012:                             ;   in Loop: Header=BB2_943 Depth=3
	flat_store_dword v[46:47], v26
.LBB2_1013:                             ;   in Loop: Header=BB2_943 Depth=3
	s_or_b64 exec, exec, s[26:27]
	v_and_b32_e32 v2, 48, v62
	v_cmp_ne_u32_e32 vcc, 0, v2
	s_and_saveexec_b64 s[26:27], vcc
	s_cbranch_execz .LBB2_942
; %bb.1014:                             ;   in Loop: Header=BB2_943 Depth=3
	v_add_co_u32_e32 v32, vcc, 2, v32
	v_addc_co_u32_e32 v33, vcc, 0, v33, vcc
	flat_store_dwordx2 v[34:35], v[32:33]
	s_branch .LBB2_942
.LBB2_1015:                             ;   in Loop: Header=BB2_758 Depth=2
	s_or_b64 exec, exec, s[38:39]
	v_accvgpr_read_b32 v18, a20
	v_accvgpr_read_b32 v19, a21
	s_or_b64 exec, exec, s[36:37]
	v_cmp_gt_i32_e32 vcc, 2, v4
	s_and_saveexec_b64 s[28:29], vcc
	s_cbranch_execnz .LBB2_941
.LBB2_1016:                             ;   in Loop: Header=BB2_758 Depth=2
	s_or_b64 exec, exec, s[28:29]
	s_add_i32 s26, s66, 1
	s_cmp_eq_u32 s66, s82
	s_cbranch_scc0 .LBB2_1018
	s_branch .LBB2_1019
.LBB2_1017:                             ;   in Loop: Header=BB2_758 Depth=2
	s_or_b64 exec, exec, s[30:31]
	s_or_b64 exec, exec, s[28:29]
	s_add_i32 s26, s66, 1
	s_cmp_eq_u32 s66, s82
	s_cbranch_scc1 .LBB2_1019
.LBB2_1018:                             ;   in Loop: Header=BB2_758 Depth=2
	s_mov_b32 s66, s26
	s_branch .LBB2_758
.LBB2_1019:                             ;   in Loop: Header=BB2_47 Depth=1
	v_accvgpr_read_b32 v20, a28
	v_accvgpr_read_b32 v21, a29
.LBB2_1020:                             ;   in Loop: Header=BB2_47 Depth=1
	v_accvgpr_read_b32 v8, a30
	v_accvgpr_read_b32 v9, a31
	v_mul_lo_u32 v2, v9, s80
	v_mul_lo_u32 v3, v8, s81
	v_mad_u64_u32 v[4:5], s[26:27], v8, s80, 0
	v_add3_u32 v5, v5, v3, v2
	v_accvgpr_read_b32 v2, a32
	v_accvgpr_read_b32 v3, a33
	v_sub_co_u32_e32 v2, vcc, v2, v4
	v_subb_co_u32_e32 v3, vcc, v3, v5, vcc
	v_cmp_lt_i64_e32 vcc, v[8:9], v[2:3]
	v_cndmask_b32_e32 v2, v2, v8, vcc
	v_max_i32_e32 v12, 0, v2
	v_add_u32_e32 v3, 31, v12
	v_lshrrev_b32_e32 v3, 1, v3
	v_and_b32_e32 v3, 0x3ffffff0, v3
	v_cmp_lt_i32_e32 vcc, 0, v2
	v_max_i32_e32 v13, s79, v3
	s_and_b64 s[26:27], s[58:59], vcc
	v_mov_b32_e32 v3, 0
	v_mov_b32_e32 v2, 0
	s_and_saveexec_b64 s[28:29], s[26:27]
	s_cbranch_execz .LBB2_1160
; %bb.1021:                             ;   in Loop: Header=BB2_47 Depth=1
	v_accvgpr_read_b32 v2, a34
	v_accvgpr_read_b32 v3, a35
	v_add_co_u32_e32 v4, vcc, v4, v2
	v_addc_co_u32_e32 v5, vcc, v5, v3, vcc
	s_mov_b32 s66, 1
	s_mov_b64 s[34:35], -1
	s_mov_b64 s[30:31], 0
	v_mov_b32_e32 v2, 0
	v_lshlrev_b64 v[8:9], 2, v[4:5]
	s_branch .LBB2_1023
.LBB2_1022:                             ;   in Loop: Header=BB2_1023 Depth=2
	s_or_b64 exec, exec, s[26:27]
	v_add_u32_e32 v2, v13, v2
	v_cmp_ge_i32_e32 vcc, v2, v12
	s_xor_b64 s[26:27], s[34:35], -1
	s_or_b64 s[26:27], s[26:27], vcc
	s_and_b64 s[26:27], exec, s[26:27]
	s_or_b64 s[30:31], s[26:27], s[30:31]
	s_mov_b64 s[34:35], 0
	v_mov_b32_e32 v3, s66
	s_mov_b32 s66, 2
	s_andn2_b64 exec, exec, s[30:31]
	s_cbranch_execz .LBB2_1159
.LBB2_1023:                             ;   Parent Loop BB2_47 Depth=1
                                        ; =>  This Loop Header: Depth=2
                                        ;       Child Loop BB2_1031 Depth 3
                                        ;       Child Loop BB2_1055 Depth 3
	;; [unrolled: 1-line block ×9, first 2 shown]
	s_and_saveexec_b64 s[26:27], s[4:5]
	s_cbranch_execz .LBB2_1025
; %bb.1024:                             ;   in Loop: Header=BB2_1023 Depth=2
	s_trap 2
	ds_read_b128 v[14:17], v0
	v_ashrrev_i32_e32 v3, 31, v2
	v_lshlrev_b64 v[4:5], 2, v[2:3]
	s_waitcnt lgkmcnt(0)
	v_add_co_u32_e32 v10, vcc, v14, v8
	v_addc_co_u32_e32 v11, vcc, v15, v9, vcc
	v_add_co_u32_e32 v10, vcc, v10, v4
	v_addc_co_u32_e32 v11, vcc, v11, v5, vcc
	v_add_co_u32_e32 v3, vcc, v16, v8
	ds_write_b64 v0, v[10:11]
	v_addc_co_u32_e32 v10, vcc, v17, v9, vcc
	v_add_co_u32_e32 v3, vcc, v3, v4
	v_addc_co_u32_e32 v4, vcc, v10, v5, vcc
	v_cmp_ne_u64_e32 vcc, 0, v[16:17]
	v_cndmask_b32_e32 v5, 0, v4, vcc
	v_cndmask_b32_e32 v4, 0, v3, vcc
	ds_write_b64 v0, v[4:5]
.LBB2_1025:                             ;   in Loop: Header=BB2_1023 Depth=2
	s_or_b64 exec, exec, s[26:27]
	v_and_b32_e32 v3, 4, v62
	v_cmp_ne_u32_e32 vcc, 0, v3
	s_mov_b64 s[36:37], -1
	s_and_saveexec_b64 s[26:27], vcc
	s_cbranch_execz .LBB2_1035
; %bb.1026:                             ;   in Loop: Header=BB2_1023 Depth=2
	v_add_co_u32_e32 v4, vcc, 2, v32
	v_addc_co_u32_e32 v5, vcc, 0, v33, vcc
	v_cmp_lt_u64_e32 vcc, v[50:51], v[4:5]
	v_mov_b32_e32 v3, 1
	s_and_saveexec_b64 s[36:37], vcc
	s_cbranch_execz .LBB2_1046
; %bb.1027:                             ;   in Loop: Header=BB2_1023 Depth=2
	s_mov_b64 s[38:39], 0
	v_mov_b32_e32 v3, 0
                                        ; implicit-def: $sgpr40_sgpr41
	s_branch .LBB2_1031
.LBB2_1028:                             ;   in Loop: Header=BB2_1031 Depth=3
	s_or_b64 exec, exec, s[62:63]
	v_mov_b32_e32 v10, 0
	s_orn2_b64 s[60:61], s[60:61], exec
.LBB2_1029:                             ;   in Loop: Header=BB2_1031 Depth=3
	s_or_b64 exec, exec, s[44:45]
	s_andn2_b64 vcc, s[40:41], exec
	s_and_b64 s[40:41], s[60:61], exec
	s_or_b64 s[40:41], vcc, s[40:41]
	v_mov_b32_e32 v3, v10
.LBB2_1030:                             ;   in Loop: Header=BB2_1031 Depth=3
	s_or_b64 exec, exec, s[42:43]
	s_waitcnt vmcnt(0) lgkmcnt(0)
	v_cmp_ge_u64_e32 vcc, v[50:51], v[4:5]
	s_xor_b64 s[42:43], s[40:41], -1
	s_or_b64 vcc, s[42:43], vcc
	s_and_b64 vcc, exec, vcc
	s_or_b64 s[38:39], vcc, s[38:39]
	s_andn2_b64 exec, exec, s[38:39]
	s_cbranch_execz .LBB2_1045
.LBB2_1031:                             ;   Parent Loop BB2_47 Depth=1
                                        ;     Parent Loop BB2_1023 Depth=2
                                        ; =>    This Inner Loop Header: Depth=3
	s_sleep 1
	flat_load_dwordx2 v[50:51], v[34:35] glc
	v_and_b32_e32 v10, 64, v62
	v_cmp_eq_u32_e32 vcc, 0, v10
	s_andn2_b64 s[40:41], s[40:41], exec
	s_and_saveexec_b64 s[42:43], vcc
	s_cbranch_execz .LBB2_1030
; %bb.1032:                             ;   in Loop: Header=BB2_1031 Depth=3
	v_add_u32_e32 v10, 1, v3
	v_cmp_lt_i32_e32 vcc, s83, v3
	s_mov_b64 s[60:61], -1
	s_and_saveexec_b64 s[44:45], vcc
	s_cbranch_execz .LBB2_1029
; %bb.1033:                             ;   in Loop: Header=BB2_1031 Depth=3
	s_trap 2
	ds_read_b64 v[10:11], v0
	s_waitcnt vmcnt(0) lgkmcnt(0)
	flat_load_dword v3, v[10:11] glc
	s_waitcnt vmcnt(0) lgkmcnt(0)
	buffer_invl2
	buffer_wbinvl1_vol
	v_cmp_ne_u32_e32 vcc, 0, v3
	s_and_saveexec_b64 s[62:63], vcc
	s_cbranch_execz .LBB2_1028
; %bb.1034:                             ;   in Loop: Header=BB2_1031 Depth=3
	v_or_b32_e32 v62, 64, v62
	s_xor_b64 s[60:61], exec, -1
	ds_write_b32 v0, v3
	s_trap 2
	s_branch .LBB2_1028
.LBB2_1035:                             ;   in Loop: Header=BB2_1023 Depth=2
	s_or_b64 exec, exec, s[26:27]
	s_xor_b64 s[26:27], s[36:37], -1
	s_and_saveexec_b64 s[36:37], s[26:27]
	s_cbranch_execz .LBB2_1047
.LBB2_1036:                             ;   in Loop: Header=BB2_1023 Depth=2
	v_and_b32_e32 v3, 0x100, v62
	v_cmp_ne_u32_e32 vcc, 0, v3
	v_and_b32_e32 v3, 7, v32
	s_mov_b64 s[26:27], -1
                                        ; implicit-def: $vgpr4_vgpr5
	s_and_saveexec_b64 s[38:39], vcc
	s_cbranch_execz .LBB2_1040
; %bb.1037:                             ;   in Loop: Header=BB2_1023 Depth=2
	v_mad_u64_u32 v[10:11], s[26:27], v3, 24, v[38:39]
	flat_load_dword v4, v[10:11]
	s_waitcnt vmcnt(0) lgkmcnt(0)
	v_cmp_ne_u32_e32 vcc, 1, v4
	v_cmp_eq_u32_e64 s[26:27], 1, v4
                                        ; implicit-def: $vgpr4_vgpr5
	s_and_saveexec_b64 s[40:41], s[26:27]
	s_cbranch_execz .LBB2_1039
; %bb.1038:                             ;   in Loop: Header=BB2_1023 Depth=2
	flat_load_dword v4, v[10:11] offset:4 glc
	s_waitcnt vmcnt(0) lgkmcnt(0)
	v_ashrrev_i32_e32 v5, 31, v4
	v_lshrrev_b64 v[4:5], 2, v[4:5]
.LBB2_1039:                             ;   in Loop: Header=BB2_1023 Depth=2
	s_or_b64 exec, exec, s[40:41]
	s_orn2_b64 s[26:27], vcc, exec
.LBB2_1040:                             ;   in Loop: Header=BB2_1023 Depth=2
	s_or_b64 exec, exec, s[38:39]
	s_and_saveexec_b64 vcc, s[26:27]
; %bb.1041:                             ;   in Loop: Header=BB2_1023 Depth=2
	v_mad_i64_i32 v[4:5], s[26:27], v3, v30, 0
; %bb.1042:                             ;   in Loop: Header=BB2_1023 Depth=2
	s_or_b64 exec, exec, vcc
	v_lshlrev_b64 v[4:5], 2, v[4:5]
	v_add_co_u32_e32 v4, vcc, v36, v4
	v_addc_co_u32_e32 v5, vcc, v37, v5, vcc
	v_and_b32_e32 v3, 0x2000, v62
	v_cmp_ne_u32_e32 vcc, 0, v3
	ds_write_b64 v0, v[4:5] offset:720
	s_and_saveexec_b64 s[26:27], vcc
	s_cbranch_execz .LBB2_1044
; %bb.1043:                             ;   in Loop: Header=BB2_1023 Depth=2
	ds_read_b64 v[4:5], v0 offset:584
	s_waitcnt lgkmcnt(0)
	v_add_co_u32_e32 v4, vcc, 1, v4
	v_addc_co_u32_e32 v5, vcc, 0, v5, vcc
	ds_write_b64 v0, v[4:5] offset:584
.LBB2_1044:                             ;   in Loop: Header=BB2_1023 Depth=2
	s_or_b64 exec, exec, s[26:27]
	v_add_co_u32_e32 v32, vcc, 2, v32
	v_addc_co_u32_e32 v33, vcc, 0, v33, vcc
	s_or_b64 exec, exec, s[36:37]
	s_and_saveexec_b64 s[26:27], s[10:11]
	s_cbranch_execz .LBB2_1066
	s_branch .LBB2_1048
.LBB2_1045:                             ;   in Loop: Header=BB2_1023 Depth=2
	s_or_b64 exec, exec, s[38:39]
	v_and_b32_e32 v3, 4, v62
.LBB2_1046:                             ;   in Loop: Header=BB2_1023 Depth=2
	s_or_b64 exec, exec, s[36:37]
	v_cmp_eq_u32_e32 vcc, 0, v3
	s_orn2_b64 s[36:37], vcc, exec
	;;#ASMSTART
	s_wakeup
	;;#ASMEND
	s_or_b64 exec, exec, s[26:27]
	s_xor_b64 s[26:27], s[36:37], -1
	s_and_saveexec_b64 s[36:37], s[26:27]
	s_cbranch_execnz .LBB2_1036
.LBB2_1047:                             ;   in Loop: Header=BB2_1023 Depth=2
	s_or_b64 exec, exec, s[36:37]
	s_and_saveexec_b64 s[26:27], s[10:11]
	s_cbranch_execz .LBB2_1066
.LBB2_1048:                             ;   in Loop: Header=BB2_1023 Depth=2
	s_and_saveexec_b64 vcc, s[52:53]
	s_xor_b64 s[36:37], exec, vcc
	s_cbranch_execz .LBB2_1063
; %bb.1049:                             ;   in Loop: Header=BB2_1023 Depth=2
	s_and_saveexec_b64 s[38:39], s[16:17]
	s_cbranch_execz .LBB2_1062
; %bb.1050:                             ;   in Loop: Header=BB2_1023 Depth=2
	s_mov_b64 s[42:43], exec
	v_mbcnt_lo_u32_b32 v3, s42, 0
	v_mbcnt_hi_u32_b32 v3, s43, v3
	v_cmp_eq_u32_e32 vcc, 0, v3
	s_waitcnt vmcnt(0) lgkmcnt(0)
	buffer_wbinvl1_vol
	s_and_saveexec_b64 s[40:41], vcc
	s_cbranch_execz .LBB2_1052
; %bb.1051:                             ;   in Loop: Header=BB2_1023 Depth=2
	s_bcnt1_i32_b64 vcc_lo, s[42:43]
	v_mov_b32_e32 v4, vcc_lo
	v_mov_b32_e32 v5, v52
	ds_add_u64 v0, v[4:5]
	s_trap 2
.LBB2_1052:                             ;   in Loop: Header=BB2_1023 Depth=2
	s_or_b64 exec, exec, s[40:41]
	s_trap 2
	ds_read_b64 v[4:5], v0
	v_add_co_u32_e32 v48, vcc, v48, v54
	v_addc_co_u32_e32 v49, vcc, 0, v49, vcc
	s_waitcnt lgkmcnt(0)
	v_cmp_lt_u64_e32 vcc, v[4:5], v[48:49]
	s_and_saveexec_b64 s[40:41], vcc
	s_cbranch_execz .LBB2_1061
; %bb.1053:                             ;   in Loop: Header=BB2_1023 Depth=2
	s_mov_b32 s67, 0
	s_mov_b64 s[42:43], 0
                                        ; implicit-def: $sgpr44_sgpr45
                                        ; implicit-def: $sgpr60_sgpr61
	s_branch .LBB2_1055
.LBB2_1054:                             ;   in Loop: Header=BB2_1055 Depth=3
	s_or_b64 exec, exec, s[64:65]
	s_and_b64 vcc, exec, vcc
	s_or_b64 s[42:43], vcc, s[42:43]
	s_andn2_b64 vcc, s[44:45], exec
	s_and_b64 s[44:45], s[60:61], exec
	s_or_b64 s[44:45], vcc, s[44:45]
	s_andn2_b64 exec, exec, s[42:43]
	s_cbranch_execz .LBB2_1059
.LBB2_1055:                             ;   Parent Loop BB2_47 Depth=1
                                        ;     Parent Loop BB2_1023 Depth=2
                                        ; =>    This Inner Loop Header: Depth=3
	s_add_i32 s67, s67, 1
	s_cmpk_lg_i32 s67, 0x2710
	s_cselect_b64 s[62:63], -1, 0
	s_and_b64 vcc, exec, s[62:63]
                                        ; implicit-def: $sgpr64_sgpr65
	s_cbranch_vccnz .LBB2_1057
; %bb.1056:                             ;   in Loop: Header=BB2_1055 Depth=3
	s_trap 2
	ds_read_b64 v[4:5], v0
	s_andn2_b64 s[62:63], s[62:63], exec
	s_mov_b32 s67, 0
	s_mov_b64 s[64:65], -1
	s_waitcnt lgkmcnt(0)
	flat_load_dword v3, v[4:5] glc
	s_waitcnt vmcnt(0) lgkmcnt(0)
	buffer_invl2
	buffer_wbinvl1_vol
	v_cmp_eq_u32_e32 vcc, 0, v3
	s_and_b64 vcc, vcc, exec
	s_or_b64 s[62:63], s[62:63], vcc
.LBB2_1057:                             ;   in Loop: Header=BB2_1055 Depth=3
	s_andn2_b64 s[60:61], s[60:61], exec
	s_and_b64 s[64:65], s[64:65], exec
	s_mov_b64 vcc, -1
	s_or_b64 s[60:61], s[60:61], s[64:65]
	s_and_saveexec_b64 s[64:65], s[62:63]
	s_cbranch_execz .LBB2_1054
; %bb.1058:                             ;   in Loop: Header=BB2_1055 Depth=3
	s_sleep 1
	s_trap 2
	ds_read_b64 v[4:5], v0
	s_andn2_b64 s[60:61], s[60:61], exec
	s_waitcnt lgkmcnt(0)
	v_cmp_ge_u64_e32 vcc, v[4:5], v[48:49]
	s_orn2_b64 vcc, vcc, exec
	s_branch .LBB2_1054
.LBB2_1059:                             ;   in Loop: Header=BB2_1023 Depth=2
	s_or_b64 exec, exec, s[42:43]
	s_and_saveexec_b64 vcc, s[44:45]
	s_xor_b64 vcc, exec, vcc
	s_cbranch_execz .LBB2_1061
; %bb.1060:                             ;   in Loop: Header=BB2_1023 Depth=2
	ds_write_b32 v0, v26
	s_trap 2
.LBB2_1061:                             ;   in Loop: Header=BB2_1023 Depth=2
	s_or_b64 exec, exec, s[40:41]
	;;#ASMSTART
	s_wakeup
	;;#ASMEND
.LBB2_1062:                             ;   in Loop: Header=BB2_1023 Depth=2
	s_or_b64 exec, exec, s[38:39]
.LBB2_1063:                             ;   in Loop: Header=BB2_1023 Depth=2
	s_andn2_saveexec_b64 vcc, s[36:37]
	s_cbranch_execz .LBB2_1065
; %bb.1064:                             ;   in Loop: Header=BB2_1023 Depth=2
	s_waitcnt vmcnt(0) lgkmcnt(0)
	buffer_wbinvl1_vol
	s_barrier
.LBB2_1065:                             ;   in Loop: Header=BB2_1023 Depth=2
	s_or_b64 exec, exec, vcc
.LBB2_1066:                             ;   in Loop: Header=BB2_1023 Depth=2
	s_or_b64 exec, exec, s[26:27]
	s_trap 2
	ds_read_b32 v3, v0
	v_and_b32_e32 v4, 0x4000, v62
	v_cmp_ne_u32_e32 vcc, 0, v4
	s_xor_b64 s[26:27], s[6:7], -1
	s_and_b64 vcc, s[26:27], vcc
	s_and_saveexec_b64 s[26:27], vcc
	s_cbranch_execz .LBB2_1085
; %bb.1067:                             ;   in Loop: Header=BB2_1023 Depth=2
	s_and_saveexec_b64 vcc, s[52:53]
	s_xor_b64 s[36:37], exec, vcc
	s_cbranch_execz .LBB2_1082
; %bb.1068:                             ;   in Loop: Header=BB2_1023 Depth=2
	s_and_saveexec_b64 s[38:39], s[16:17]
	s_cbranch_execz .LBB2_1081
; %bb.1069:                             ;   in Loop: Header=BB2_1023 Depth=2
	s_mov_b64 s[42:43], exec
	v_mbcnt_lo_u32_b32 v4, s42, 0
	v_mbcnt_hi_u32_b32 v4, s43, v4
	v_cmp_eq_u32_e32 vcc, 0, v4
	s_waitcnt vmcnt(0) lgkmcnt(0)
	buffer_wbinvl1_vol
	s_and_saveexec_b64 s[40:41], vcc
	s_cbranch_execz .LBB2_1071
; %bb.1070:                             ;   in Loop: Header=BB2_1023 Depth=2
	s_bcnt1_i32_b64 vcc_lo, s[42:43]
	v_mov_b32_e32 v4, vcc_lo
	v_mov_b32_e32 v5, v52
	ds_add_u64 v0, v[4:5]
	s_trap 2
.LBB2_1071:                             ;   in Loop: Header=BB2_1023 Depth=2
	s_or_b64 exec, exec, s[40:41]
	s_trap 2
	ds_read_b64 v[4:5], v0
	v_add_co_u32_e32 v48, vcc, v48, v54
	v_addc_co_u32_e32 v49, vcc, 0, v49, vcc
	s_waitcnt lgkmcnt(0)
	v_cmp_lt_u64_e32 vcc, v[4:5], v[48:49]
	s_and_saveexec_b64 s[40:41], vcc
	s_cbranch_execz .LBB2_1080
; %bb.1072:                             ;   in Loop: Header=BB2_1023 Depth=2
	s_mov_b32 s67, 0
	s_mov_b64 s[42:43], 0
                                        ; implicit-def: $sgpr44_sgpr45
                                        ; implicit-def: $sgpr60_sgpr61
	s_branch .LBB2_1074
.LBB2_1073:                             ;   in Loop: Header=BB2_1074 Depth=3
	s_or_b64 exec, exec, s[64:65]
	s_and_b64 vcc, exec, vcc
	s_or_b64 s[42:43], vcc, s[42:43]
	s_andn2_b64 vcc, s[44:45], exec
	s_and_b64 s[44:45], s[60:61], exec
	s_or_b64 s[44:45], vcc, s[44:45]
	s_andn2_b64 exec, exec, s[42:43]
	s_cbranch_execz .LBB2_1078
.LBB2_1074:                             ;   Parent Loop BB2_47 Depth=1
                                        ;     Parent Loop BB2_1023 Depth=2
                                        ; =>    This Inner Loop Header: Depth=3
	s_add_i32 s67, s67, 1
	s_cmpk_lg_i32 s67, 0x2710
	s_cselect_b64 s[62:63], -1, 0
	s_and_b64 vcc, exec, s[62:63]
                                        ; implicit-def: $sgpr64_sgpr65
	s_cbranch_vccnz .LBB2_1076
; %bb.1075:                             ;   in Loop: Header=BB2_1074 Depth=3
	s_trap 2
	ds_read_b64 v[4:5], v0
	s_andn2_b64 s[62:63], s[62:63], exec
	s_mov_b32 s67, 0
	s_mov_b64 s[64:65], -1
	s_waitcnt lgkmcnt(0)
	flat_load_dword v4, v[4:5] glc
	s_waitcnt vmcnt(0) lgkmcnt(0)
	buffer_invl2
	buffer_wbinvl1_vol
	v_cmp_eq_u32_e32 vcc, 0, v4
	s_and_b64 vcc, vcc, exec
	s_or_b64 s[62:63], s[62:63], vcc
.LBB2_1076:                             ;   in Loop: Header=BB2_1074 Depth=3
	s_andn2_b64 s[60:61], s[60:61], exec
	s_and_b64 s[64:65], s[64:65], exec
	s_mov_b64 vcc, -1
	s_or_b64 s[60:61], s[60:61], s[64:65]
	s_and_saveexec_b64 s[64:65], s[62:63]
	s_cbranch_execz .LBB2_1073
; %bb.1077:                             ;   in Loop: Header=BB2_1074 Depth=3
	s_sleep 1
	s_trap 2
	ds_read_b64 v[4:5], v0
	s_andn2_b64 s[60:61], s[60:61], exec
	s_waitcnt lgkmcnt(0)
	v_cmp_ge_u64_e32 vcc, v[4:5], v[48:49]
	s_orn2_b64 vcc, vcc, exec
	s_branch .LBB2_1073
.LBB2_1078:                             ;   in Loop: Header=BB2_1023 Depth=2
	s_or_b64 exec, exec, s[42:43]
	s_and_saveexec_b64 vcc, s[44:45]
	s_xor_b64 vcc, exec, vcc
	s_cbranch_execz .LBB2_1080
; %bb.1079:                             ;   in Loop: Header=BB2_1023 Depth=2
	ds_write_b32 v0, v26
	s_trap 2
.LBB2_1080:                             ;   in Loop: Header=BB2_1023 Depth=2
	s_or_b64 exec, exec, s[40:41]
	;;#ASMSTART
	s_wakeup
	;;#ASMEND
.LBB2_1081:                             ;   in Loop: Header=BB2_1023 Depth=2
	s_or_b64 exec, exec, s[38:39]
.LBB2_1082:                             ;   in Loop: Header=BB2_1023 Depth=2
	s_andn2_saveexec_b64 vcc, s[36:37]
	s_cbranch_execz .LBB2_1084
; %bb.1083:                             ;   in Loop: Header=BB2_1023 Depth=2
	s_waitcnt vmcnt(0) lgkmcnt(0)
	buffer_wbinvl1_vol
	s_barrier
.LBB2_1084:                             ;   in Loop: Header=BB2_1023 Depth=2
	s_or_b64 exec, exec, vcc
.LBB2_1085:                             ;   in Loop: Header=BB2_1023 Depth=2
	s_or_b64 exec, exec, s[26:27]
	s_trap 2
	ds_read_b64 v[4:5], v0
	v_sub_u32_e32 v10, v12, v2
	v_min_i32_e32 v13, v13, v10
	v_mov_b32_e32 v14, 0
	s_waitcnt lgkmcnt(0)
	v_readfirstlane_b32 s26, v4
	v_readfirstlane_b32 s27, v5
	s_cmp_eq_u64 s[26:27], 0
	s_cselect_b64 s[26:27], -1, 0
	s_or_b64 s[26:27], s[26:27], s[26:27]
	s_and_b64 vcc, exec, s[26:27]
	s_cbranch_vccnz .LBB2_1101
; %bb.1086:                             ;   in Loop: Header=BB2_1023 Depth=2
	s_mov_b64 s[26:27], -1
	s_and_saveexec_b64 s[36:37], s[20:21]
	s_cbranch_execz .LBB2_1088
; %bb.1087:                             ;   in Loop: Header=BB2_1023 Depth=2
	ds_read_b32 v4, v0 offset:720
	s_waitcnt lgkmcnt(0)
	v_and_b32_e32 v4, 15, v4
	v_cmp_eq_u32_e32 vcc, 0, v4
	s_orn2_b64 s[26:27], vcc, exec
.LBB2_1088:                             ;   in Loop: Header=BB2_1023 Depth=2
	s_or_b64 exec, exec, s[36:37]
	s_and_saveexec_b64 s[36:37], s[18:19]
	s_cbranch_execz .LBB2_1090
; %bb.1089:                             ;   in Loop: Header=BB2_1023 Depth=2
	ds_read_b32 v4, v0 offset:784
	s_waitcnt lgkmcnt(0)
	v_and_b32_e32 v4, 15, v4
	v_cmp_eq_u32_e32 vcc, 0, v4
	s_and_b64 vcc, s[26:27], vcc
	s_andn2_b64 s[26:27], s[26:27], exec
	s_and_b64 vcc, vcc, exec
	s_or_b64 s[26:27], s[26:27], vcc
.LBB2_1090:                             ;   in Loop: Header=BB2_1023 Depth=2
	s_or_b64 exec, exec, s[36:37]
	v_cmp_eq_u32_e32 vcc, 0, v3
	s_xor_b64 s[26:27], s[26:27], -1
	v_cndmask_b32_e32 v14, 0, v13, vcc
	v_cndmask_b32_e64 v3, 0, 1, s[26:27]
	v_mov_b32_e32 v11, 0
	v_lshlrev_b32_e32 v15, 2, v14
	s_mov_b64 s[38:39], -1
	;;#ASMSTART
	;;#ASMEND
	v_cmp_ne_u32_e32 vcc, 0, v3
	s_cbranch_vccz .LBB2_1113
; %bb.1091:                             ;   in Loop: Header=BB2_1023 Depth=2
	v_mov_b32_e32 v16, v44
	v_mov_b32_e32 v3, v57
	s_and_saveexec_b64 s[26:27], s[38:39]
	s_cbranch_execz .LBB2_1126
.LBB2_1092:                             ;   in Loop: Header=BB2_1023 Depth=2
	v_ashrrev_i32_e32 v4, 31, v15
	v_lshrrev_b32_e32 v4, 23, v4
	v_add_u32_e32 v4, v15, v4
	v_ashrrev_i32_e32 v19, 9, v4
	v_sub_u32_e32 v17, v19, v3
	v_ashrrev_i32_e32 v4, 31, v16
	v_cmp_lt_i32_e32 vcc, 0, v17
	v_lshrrev_b32_e32 v18, 26, v4
	s_and_saveexec_b64 s[36:37], vcc
	s_cbranch_execz .LBB2_1096
; %bb.1093:                             ;   in Loop: Header=BB2_1023 Depth=2
	v_add_u32_e32 v10, v16, v18
	s_trap 2
	ds_read_b64 v[4:5], v0
	v_and_b32_e32 v10, 0x3fffffc0, v10
	v_sub_u32_e32 v10, v16, v10
	v_lshlrev_b32_e32 v10, 2, v10
	v_lshlrev_b32_e32 v3, 9, v3
	v_add3_u32 v10, v10, v11, v3
	v_ashrrev_i32_e32 v3, 31, v10
	s_mov_b64 s[38:39], 0
.LBB2_1094:                             ;   Parent Loop BB2_47 Depth=1
                                        ;     Parent Loop BB2_1023 Depth=2
                                        ; =>    This Inner Loop Header: Depth=3
	s_waitcnt lgkmcnt(0)
	v_add_co_u32_e32 v20, vcc, v4, v10
	v_addc_co_u32_e32 v21, vcc, v5, v3, vcc
	flat_load_dword v22, v[20:21] glc slc
	flat_load_dword v23, v[20:21] offset:256 glc slc
	v_add_co_u32_e32 v10, vcc, v10, v31
	v_sub_u32_e32 v17, v17, v54
	v_addc_co_u32_e32 v3, vcc, v3, v1, vcc
	v_cmp_gt_i32_e32 vcc, 1, v17
	s_or_b64 s[38:39], vcc, s[38:39]
	s_waitcnt vmcnt(0) lgkmcnt(0)
	flat_store_dword v[20:21], v22 glc slc
	flat_store_dword v[20:21], v23 offset:256 glc slc
	s_andn2_b64 exec, exec, s[38:39]
	s_cbranch_execnz .LBB2_1094
; %bb.1095:                             ;   in Loop: Header=BB2_1023 Depth=2
	s_or_b64 exec, exec, s[38:39]
	v_accvgpr_read_b32 v20, a28
	v_accvgpr_read_b32 v21, a29
.LBB2_1096:                             ;   in Loop: Header=BB2_1023 Depth=2
	s_or_b64 exec, exec, s[36:37]
	v_lshlrev_b32_e32 v3, 9, v19
	v_cmp_ne_u32_e32 vcc, v15, v3
	s_and_saveexec_b64 s[36:37], vcc
	s_cbranch_execz .LBB2_1100
; %bb.1097:                             ;   in Loop: Header=BB2_1023 Depth=2
	v_add_u32_e32 v4, v16, v18
	v_and_b32_e32 v4, 0xffffffc0, v4
	v_sub_u32_e32 v4, v16, v4
	v_lshlrev_b32_e32 v5, 6, v17
	v_sub_u32_e32 v4, v4, v5
	v_ashrrev_i32_e32 v5, 31, v4
	v_lshrrev_b32_e32 v5, 26, v5
	v_add_u32_e32 v5, v4, v5
	v_and_b32_e32 v10, 0x3fffffc0, v5
	v_sub_u32_e32 v4, v4, v10
	v_lshlrev_b32_e32 v5, 2, v5
	v_and_b32_e32 v5, 0xffffff00, v5
	v_lshlrev_b32_e32 v4, 2, v4
	v_add3_u32 v3, v5, v4, v3
	v_sub_u32_e32 v15, v15, v3
	v_cmp_lt_i32_e32 vcc, 3, v15
	s_and_b64 exec, exec, vcc
	s_cbranch_execz .LBB2_1100
; %bb.1098:                             ;   in Loop: Header=BB2_1023 Depth=2
	s_trap 2
	ds_read_b64 v[4:5], v0
	v_add_u32_e32 v10, v3, v11
	v_ashrrev_i32_e32 v3, 31, v10
	s_mov_b64 s[38:39], 0
.LBB2_1099:                             ;   Parent Loop BB2_47 Depth=1
                                        ;     Parent Loop BB2_1023 Depth=2
                                        ; =>    This Inner Loop Header: Depth=3
	s_waitcnt lgkmcnt(0)
	v_add_co_u32_e32 v16, vcc, v4, v10
	v_addc_co_u32_e32 v17, vcc, v5, v3, vcc
	flat_load_dword v11, v[16:17] glc slc
	v_add_co_u32_e32 v10, vcc, v10, v61
	v_sub_u32_e32 v15, v15, v43
	v_addc_co_u32_e32 v3, vcc, v3, v28, vcc
	v_cmp_gt_i32_e32 vcc, 4, v15
	s_or_b64 s[38:39], vcc, s[38:39]
	s_waitcnt vmcnt(0) lgkmcnt(0)
	flat_store_dword v[16:17], v11 glc slc
	s_andn2_b64 exec, exec, s[38:39]
	s_cbranch_execnz .LBB2_1099
.LBB2_1100:                             ;   in Loop: Header=BB2_1023 Depth=2
	s_or_b64 exec, exec, s[36:37]
	v_accvgpr_read_b32 v18, a20
	v_accvgpr_read_b32 v19, a21
	s_or_b64 exec, exec, s[26:27]
	s_and_saveexec_b64 s[26:27], s[10:11]
	s_cbranch_execz .LBB2_1127
	s_branch .LBB2_1102
.LBB2_1101:                             ;   in Loop: Header=BB2_1023 Depth=2
	s_and_saveexec_b64 s[26:27], s[10:11]
	s_cbranch_execz .LBB2_1127
.LBB2_1102:                             ;   in Loop: Header=BB2_1023 Depth=2
	s_and_saveexec_b64 vcc, s[52:53]
	s_xor_b64 s[36:37], exec, vcc
	s_cbranch_execz .LBB2_1135
; %bb.1103:                             ;   in Loop: Header=BB2_1023 Depth=2
	s_and_saveexec_b64 s[38:39], s[16:17]
	s_cbranch_execz .LBB2_1134
; %bb.1104:                             ;   in Loop: Header=BB2_1023 Depth=2
	s_mov_b64 s[42:43], exec
	v_mbcnt_lo_u32_b32 v3, s42, 0
	v_mbcnt_hi_u32_b32 v3, s43, v3
	v_cmp_eq_u32_e32 vcc, 0, v3
	s_waitcnt vmcnt(0) lgkmcnt(0)
	buffer_wbinvl1_vol
	s_and_saveexec_b64 s[40:41], vcc
	s_cbranch_execz .LBB2_1106
; %bb.1105:                             ;   in Loop: Header=BB2_1023 Depth=2
	s_bcnt1_i32_b64 vcc_lo, s[42:43]
	v_mov_b32_e32 v4, vcc_lo
	v_mov_b32_e32 v5, v52
	ds_add_u64 v0, v[4:5]
	s_trap 2
.LBB2_1106:                             ;   in Loop: Header=BB2_1023 Depth=2
	s_or_b64 exec, exec, s[40:41]
	s_trap 2
	ds_read_b64 v[4:5], v0
	v_add_co_u32_e32 v48, vcc, v48, v54
	v_addc_co_u32_e32 v49, vcc, 0, v49, vcc
	s_waitcnt lgkmcnt(0)
	v_cmp_lt_u64_e32 vcc, v[4:5], v[48:49]
	s_and_saveexec_b64 s[40:41], vcc
	s_cbranch_execz .LBB2_1133
; %bb.1107:                             ;   in Loop: Header=BB2_1023 Depth=2
	s_mov_b32 s67, 0
	s_mov_b64 s[42:43], 0
                                        ; implicit-def: $sgpr44_sgpr45
                                        ; implicit-def: $sgpr60_sgpr61
	s_branch .LBB2_1109
.LBB2_1108:                             ;   in Loop: Header=BB2_1109 Depth=3
	s_or_b64 exec, exec, s[64:65]
	s_and_b64 vcc, exec, vcc
	s_or_b64 s[42:43], vcc, s[42:43]
	s_andn2_b64 vcc, s[44:45], exec
	s_and_b64 s[44:45], s[60:61], exec
	s_or_b64 s[44:45], vcc, s[44:45]
	s_andn2_b64 exec, exec, s[42:43]
	s_cbranch_execz .LBB2_1131
.LBB2_1109:                             ;   Parent Loop BB2_47 Depth=1
                                        ;     Parent Loop BB2_1023 Depth=2
                                        ; =>    This Inner Loop Header: Depth=3
	s_add_i32 s67, s67, 1
	s_cmpk_lg_i32 s67, 0x2710
	s_cselect_b64 s[62:63], -1, 0
	s_and_b64 vcc, exec, s[62:63]
                                        ; implicit-def: $sgpr64_sgpr65
	s_cbranch_vccnz .LBB2_1111
; %bb.1110:                             ;   in Loop: Header=BB2_1109 Depth=3
	s_trap 2
	ds_read_b64 v[4:5], v0
	s_andn2_b64 s[62:63], s[62:63], exec
	s_mov_b32 s67, 0
	s_mov_b64 s[64:65], -1
	s_waitcnt lgkmcnt(0)
	flat_load_dword v3, v[4:5] glc
	s_waitcnt vmcnt(0) lgkmcnt(0)
	buffer_invl2
	buffer_wbinvl1_vol
	v_cmp_eq_u32_e32 vcc, 0, v3
	s_and_b64 vcc, vcc, exec
	s_or_b64 s[62:63], s[62:63], vcc
.LBB2_1111:                             ;   in Loop: Header=BB2_1109 Depth=3
	s_andn2_b64 s[60:61], s[60:61], exec
	s_and_b64 s[64:65], s[64:65], exec
	s_mov_b64 vcc, -1
	s_or_b64 s[60:61], s[60:61], s[64:65]
	s_and_saveexec_b64 s[64:65], s[62:63]
	s_cbranch_execz .LBB2_1108
; %bb.1112:                             ;   in Loop: Header=BB2_1109 Depth=3
	s_sleep 1
	s_trap 2
	ds_read_b64 v[4:5], v0
	s_andn2_b64 s[60:61], s[60:61], exec
	s_waitcnt lgkmcnt(0)
	v_cmp_ge_u64_e32 vcc, v[4:5], v[48:49]
	s_orn2_b64 vcc, vcc, exec
	s_branch .LBB2_1108
.LBB2_1113:                             ;   in Loop: Header=BB2_1023 Depth=2
	v_ashrrev_i32_e32 v4, 31, v15
	v_lshrrev_b32_e32 v4, 22, v4
	v_add_u32_e32 v4, v15, v4
	v_and_b32_e32 v17, 0xfffffc00, v4
	v_sub_u32_e32 v20, v15, v17
	v_ashrrev_i32_e32 v5, 10, v4
	v_cmp_lt_i32_e32 vcc, 15, v20
	v_accvgpr_read_b32 v4, a25
	v_sub_u32_e32 v3, v15, v58
	v_addc_co_u32_e64 v19, s[26:27], v5, v4, vcc
	v_cmp_lt_i32_e64 s[26:27], 15, v3
	s_and_saveexec_b64 s[36:37], s[26:27]
	s_cbranch_execz .LBB2_1117
; %bb.1114:                             ;   in Loop: Header=BB2_1023 Depth=2
	s_trap 2
	ds_read_b64 v[4:5], v0
	s_mov_b64 s[38:39], 0
	v_pk_mov_b32 v[10:11], v[58:59], v[58:59] op_sel:[0,1]
.LBB2_1115:                             ;   Parent Loop BB2_47 Depth=1
                                        ;     Parent Loop BB2_1023 Depth=2
                                        ; =>    This Inner Loop Header: Depth=3
	s_waitcnt lgkmcnt(0)
	v_add_co_u32_e64 v26, s[26:27], v4, v10
	v_addc_co_u32_e64 v27, s[26:27], v5, v11, s[26:27]
	global_load_dwordx4 v[22:25], v[26:27], off glc slc
	v_add_co_u32_e64 v10, s[26:27], v10, v0
	v_sub_u32_e32 v3, v3, v42
	v_addc_co_u32_e64 v11, s[26:27], v11, v60, s[26:27]
	v_cmp_gt_i32_e64 s[26:27], 16, v3
	v_sub_u32_e32 v19, v19, v54
	s_or_b64 s[38:39], s[26:27], s[38:39]
	s_waitcnt vmcnt(0)
	global_store_dwordx4 v[26:27], v[22:25], off glc slc
	s_andn2_b64 exec, exec, s[38:39]
	s_cbranch_execnz .LBB2_1115
; %bb.1116:                             ;   in Loop: Header=BB2_1023 Depth=2
	s_or_b64 exec, exec, s[38:39]
	v_accvgpr_read_b32 v27, a23
	v_mov_b32_e32 v26, 1
.LBB2_1117:                             ;   in Loop: Header=BB2_1023 Depth=2
	s_or_b64 exec, exec, s[36:37]
	v_and_b32_e32 v4, 12, v15
	v_cndmask_b32_e32 v18, v20, v4, vcc
	v_cmp_ne_u32_e64 s[26:27], 0, v18
	s_mov_b64 s[38:39], 0
	v_mov_b32_e32 v11, 0
                                        ; implicit-def: $vgpr15
                                        ; implicit-def: $vgpr16
                                        ; implicit-def: $vgpr3
	s_and_saveexec_b64 s[36:37], s[26:27]
	s_cbranch_execz .LBB2_1125
; %bb.1118:                             ;   in Loop: Header=BB2_1023 Depth=2
	v_sub_u32_e32 v3, v20, v4
	v_cndmask_b32_e32 v3, 0, v3, vcc
	v_cmp_lt_i32_e32 vcc, 0, v19
	v_add_u32_e32 v17, v3, v17
	v_cndmask_b32_e32 v3, 0, v54, vcc
	v_sub_u32_e32 v3, v3, v19
	v_lshl_add_u32 v3, v3, 6, v41
	v_ashrrev_i32_e32 v4, 31, v3
	v_lshrrev_b32_e32 v4, 26, v4
	v_add_u32_e32 v4, v3, v4
	v_ashrrev_i32_e32 v5, 6, v4
	v_and_b32_e32 v4, 0xffffffc0, v4
	v_sub_u32_e32 v19, v3, v4
	v_ashrrev_i32_e32 v4, 31, v18
	v_lshrrev_b32_e32 v4, 22, v4
	v_add_u32_e32 v4, v18, v4
	v_and_b32_e32 v20, 0xfffffc00, v4
	v_lshlrev_b32_e32 v3, 4, v19
	v_sub_u32_e32 v22, v18, v20
	v_lshl_add_u32 v3, v5, 10, v3
	v_ashrrev_i32_e32 v10, 10, v4
	v_cmp_lt_i32_e32 vcc, 15, v22
	v_sub_u32_e32 v11, v18, v3
	v_addc_co_u32_e64 v4, s[26:27], 0, v10, vcc
	v_sub_u32_e32 v21, v4, v5
	v_cmp_lt_i32_e64 s[26:27], 15, v11
	s_and_saveexec_b64 s[38:39], s[26:27]
	s_cbranch_execz .LBB2_1122
; %bb.1119:                             ;   in Loop: Header=BB2_1023 Depth=2
	s_trap 2
	ds_read_b64 v[4:5], v0
	v_add_u32_e32 v10, v3, v17
	v_ashrrev_i32_e32 v3, 31, v10
	s_mov_b64 s[40:41], 0
.LBB2_1120:                             ;   Parent Loop BB2_47 Depth=1
                                        ;     Parent Loop BB2_1023 Depth=2
                                        ; =>    This Inner Loop Header: Depth=3
	s_waitcnt lgkmcnt(0)
	v_add_co_u32_e64 v38, s[26:27], v4, v10
	v_addc_co_u32_e64 v39, s[26:27], v5, v3, s[26:27]
	global_load_dwordx4 v[24:27], v[38:39], off glc slc
	v_add_co_u32_e64 v10, s[26:27], v10, v0
	v_sub_u32_e32 v11, v11, v42
	v_addc_co_u32_e64 v3, s[26:27], v3, v60, s[26:27]
	v_cmp_gt_i32_e64 s[26:27], 16, v11
	v_sub_u32_e32 v21, v21, v54
	s_or_b64 s[40:41], s[26:27], s[40:41]
	s_waitcnt vmcnt(0)
	global_store_dwordx4 v[38:39], v[24:27], off glc slc
	s_andn2_b64 exec, exec, s[40:41]
	s_cbranch_execnz .LBB2_1120
; %bb.1121:                             ;   in Loop: Header=BB2_1023 Depth=2
	s_or_b64 exec, exec, s[40:41]
	v_accvgpr_read_b32 v39, a13
	v_accvgpr_read_b32 v38, a12
	;; [unrolled: 1-line block ×3, first 2 shown]
	v_mov_b32_e32 v26, 1
.LBB2_1122:                             ;   in Loop: Header=BB2_1023 Depth=2
	s_or_b64 exec, exec, s[38:39]
	v_and_b32_e32 v4, 12, v18
	v_cndmask_b32_e32 v15, v22, v4, vcc
	v_cmp_ne_u32_e64 s[26:27], 0, v15
	s_mov_b64 s[38:39], 0
	v_mov_b32_e32 v11, 0
                                        ; implicit-def: $vgpr16
                                        ; implicit-def: $vgpr3
	s_and_saveexec_b64 s[40:41], s[26:27]
	s_cbranch_execz .LBB2_1124
; %bb.1123:                             ;   in Loop: Header=BB2_1023 Depth=2
	v_sub_u32_e32 v3, v22, v4
	v_cndmask_b32_e32 v3, 0, v3, vcc
	v_cmp_lt_i32_e32 vcc, 0, v21
	v_add3_u32 v11, v20, v17, v3
	v_cndmask_b32_e32 v3, 0, v54, vcc
	v_sub_u32_e32 v3, v3, v21
	v_lshl_add_u32 v16, v3, 6, v19
	v_ashrrev_i32_e32 v3, 31, v16
	v_lshrrev_b32_e32 v3, 26, v3
	v_add_u32_e32 v3, v16, v3
	s_mov_b64 s[38:39], exec
	v_ashrrev_i32_e32 v3, 6, v3
.LBB2_1124:                             ;   in Loop: Header=BB2_1023 Depth=2
	s_or_b64 exec, exec, s[40:41]
	s_and_b64 s[38:39], s[38:39], exec
.LBB2_1125:                             ;   in Loop: Header=BB2_1023 Depth=2
	s_or_b64 exec, exec, s[36:37]
	v_accvgpr_read_b32 v18, a20
	v_accvgpr_read_b32 v20, a28
	;; [unrolled: 1-line block ×4, first 2 shown]
	s_and_saveexec_b64 s[26:27], s[38:39]
	s_cbranch_execnz .LBB2_1092
.LBB2_1126:                             ;   in Loop: Header=BB2_1023 Depth=2
	s_or_b64 exec, exec, s[26:27]
	s_and_saveexec_b64 s[26:27], s[10:11]
	s_cbranch_execnz .LBB2_1102
.LBB2_1127:                             ;   in Loop: Header=BB2_1023 Depth=2
	s_or_b64 exec, exec, s[26:27]
	s_and_saveexec_b64 s[26:27], s[24:25]
	s_xor_b64 s[36:37], exec, s[26:27]
	s_cbranch_execz .LBB2_1138
.LBB2_1128:                             ;   in Loop: Header=BB2_1023 Depth=2
	v_and_b32_e32 v3, 16, v62
	v_cmp_lt_i32_e32 vcc, 0, v14
	v_cmp_ne_u32_e64 s[26:27], 0, v3
	s_and_b64 vcc, s[26:27], vcc
	s_and_saveexec_b64 s[26:27], vcc
	s_cbranch_execz .LBB2_1130
; %bb.1129:                             ;   in Loop: Header=BB2_1023 Depth=2
	s_waitcnt vmcnt(0) lgkmcnt(0)
	buffer_wbinvl1_vol
.LBB2_1130:                             ;   in Loop: Header=BB2_1023 Depth=2
	s_or_b64 exec, exec, s[26:27]
	s_andn2_saveexec_b64 s[26:27], s[36:37]
	s_cbranch_execz .LBB2_1157
	s_branch .LBB2_1139
.LBB2_1131:                             ;   in Loop: Header=BB2_1023 Depth=2
	s_or_b64 exec, exec, s[42:43]
	s_and_saveexec_b64 vcc, s[44:45]
	s_xor_b64 vcc, exec, vcc
	s_cbranch_execz .LBB2_1133
; %bb.1132:                             ;   in Loop: Header=BB2_1023 Depth=2
	ds_write_b32 v0, v26
	s_trap 2
.LBB2_1133:                             ;   in Loop: Header=BB2_1023 Depth=2
	s_or_b64 exec, exec, s[40:41]
	;;#ASMSTART
	s_wakeup
	;;#ASMEND
.LBB2_1134:                             ;   in Loop: Header=BB2_1023 Depth=2
	s_or_b64 exec, exec, s[38:39]
.LBB2_1135:                             ;   in Loop: Header=BB2_1023 Depth=2
	s_andn2_saveexec_b64 vcc, s[36:37]
	s_cbranch_execz .LBB2_1137
; %bb.1136:                             ;   in Loop: Header=BB2_1023 Depth=2
	s_waitcnt vmcnt(0) lgkmcnt(0)
	buffer_wbinvl1_vol
	s_barrier
.LBB2_1137:                             ;   in Loop: Header=BB2_1023 Depth=2
	s_or_b64 exec, exec, vcc
	s_or_b64 exec, exec, s[26:27]
	s_and_saveexec_b64 s[26:27], s[24:25]
	s_xor_b64 s[36:37], exec, s[26:27]
	s_cbranch_execnz .LBB2_1128
.LBB2_1138:                             ;   in Loop: Header=BB2_1023 Depth=2
	s_andn2_saveexec_b64 s[26:27], s[36:37]
	s_cbranch_execz .LBB2_1157
.LBB2_1139:                             ;   in Loop: Header=BB2_1023 Depth=2
	s_and_saveexec_b64 vcc, s[52:53]
	s_xor_b64 s[36:37], exec, vcc
	s_cbranch_execz .LBB2_1154
; %bb.1140:                             ;   in Loop: Header=BB2_1023 Depth=2
	s_and_saveexec_b64 s[38:39], s[16:17]
	s_cbranch_execz .LBB2_1153
; %bb.1141:                             ;   in Loop: Header=BB2_1023 Depth=2
	s_mov_b64 s[42:43], exec
	v_mbcnt_lo_u32_b32 v3, s42, 0
	v_mbcnt_hi_u32_b32 v3, s43, v3
	v_cmp_eq_u32_e32 vcc, 0, v3
	;;#ASMSTART
	s_waitcnt lgkmcnt(0) vmcnt(0)
	;;#ASMEND
	s_and_saveexec_b64 s[40:41], vcc
	s_cbranch_execz .LBB2_1143
; %bb.1142:                             ;   in Loop: Header=BB2_1023 Depth=2
	s_bcnt1_i32_b64 vcc_lo, s[42:43]
	v_mov_b32_e32 v4, vcc_lo
	v_mov_b32_e32 v5, v52
	ds_add_u64 v0, v[4:5]
	s_trap 2
.LBB2_1143:                             ;   in Loop: Header=BB2_1023 Depth=2
	s_or_b64 exec, exec, s[40:41]
	s_trap 2
	ds_read_b64 v[4:5], v0
	v_add_co_u32_e32 v48, vcc, v48, v54
	v_addc_co_u32_e32 v49, vcc, 0, v49, vcc
	s_waitcnt lgkmcnt(0)
	v_cmp_lt_u64_e32 vcc, v[4:5], v[48:49]
	s_and_saveexec_b64 s[40:41], vcc
	s_cbranch_execz .LBB2_1152
; %bb.1144:                             ;   in Loop: Header=BB2_1023 Depth=2
	s_mov_b32 s67, 0
	s_mov_b64 s[42:43], 0
                                        ; implicit-def: $sgpr44_sgpr45
                                        ; implicit-def: $sgpr60_sgpr61
	s_branch .LBB2_1146
.LBB2_1145:                             ;   in Loop: Header=BB2_1146 Depth=3
	s_or_b64 exec, exec, s[64:65]
	s_and_b64 vcc, exec, vcc
	s_or_b64 s[42:43], vcc, s[42:43]
	s_andn2_b64 vcc, s[44:45], exec
	s_and_b64 s[44:45], s[60:61], exec
	s_or_b64 s[44:45], vcc, s[44:45]
	s_andn2_b64 exec, exec, s[42:43]
	s_cbranch_execz .LBB2_1150
.LBB2_1146:                             ;   Parent Loop BB2_47 Depth=1
                                        ;     Parent Loop BB2_1023 Depth=2
                                        ; =>    This Inner Loop Header: Depth=3
	s_add_i32 s67, s67, 1
	s_cmpk_lg_i32 s67, 0x2710
	s_cselect_b64 s[62:63], -1, 0
	s_and_b64 vcc, exec, s[62:63]
                                        ; implicit-def: $sgpr64_sgpr65
	s_cbranch_vccnz .LBB2_1148
; %bb.1147:                             ;   in Loop: Header=BB2_1146 Depth=3
	s_trap 2
	ds_read_b64 v[4:5], v0
	s_andn2_b64 s[62:63], s[62:63], exec
	s_mov_b32 s67, 0
	s_mov_b64 s[64:65], -1
	s_waitcnt vmcnt(0) lgkmcnt(0)
	flat_load_dword v3, v[4:5] glc
	s_waitcnt vmcnt(0) lgkmcnt(0)
	buffer_invl2
	buffer_wbinvl1_vol
	v_cmp_eq_u32_e32 vcc, 0, v3
	s_and_b64 vcc, vcc, exec
	s_or_b64 s[62:63], s[62:63], vcc
.LBB2_1148:                             ;   in Loop: Header=BB2_1146 Depth=3
	s_andn2_b64 s[60:61], s[60:61], exec
	s_and_b64 s[64:65], s[64:65], exec
	s_mov_b64 vcc, -1
	s_or_b64 s[60:61], s[60:61], s[64:65]
	s_and_saveexec_b64 s[64:65], s[62:63]
	s_cbranch_execz .LBB2_1145
; %bb.1149:                             ;   in Loop: Header=BB2_1146 Depth=3
	s_sleep 1
	s_trap 2
	ds_read_b64 v[4:5], v0
	s_andn2_b64 s[60:61], s[60:61], exec
	s_waitcnt lgkmcnt(0)
	v_cmp_ge_u64_e32 vcc, v[4:5], v[48:49]
	s_orn2_b64 vcc, vcc, exec
	s_branch .LBB2_1145
.LBB2_1150:                             ;   in Loop: Header=BB2_1023 Depth=2
	s_or_b64 exec, exec, s[42:43]
	s_and_saveexec_b64 vcc, s[44:45]
	s_xor_b64 vcc, exec, vcc
	s_cbranch_execz .LBB2_1152
; %bb.1151:                             ;   in Loop: Header=BB2_1023 Depth=2
	ds_write_b32 v0, v26
	s_trap 2
.LBB2_1152:                             ;   in Loop: Header=BB2_1023 Depth=2
	s_or_b64 exec, exec, s[40:41]
	;;#ASMSTART
	s_wakeup
	;;#ASMEND
.LBB2_1153:                             ;   in Loop: Header=BB2_1023 Depth=2
	s_or_b64 exec, exec, s[38:39]
.LBB2_1154:                             ;   in Loop: Header=BB2_1023 Depth=2
	s_andn2_saveexec_b64 vcc, s[36:37]
	s_cbranch_execz .LBB2_1156
; %bb.1155:                             ;   in Loop: Header=BB2_1023 Depth=2
	;;#ASMSTART
	s_waitcnt lgkmcnt(0) vmcnt(0)
	;;#ASMEND
	s_barrier
.LBB2_1156:                             ;   in Loop: Header=BB2_1023 Depth=2
	s_or_b64 exec, exec, vcc
.LBB2_1157:                             ;   in Loop: Header=BB2_1023 Depth=2
	s_or_b64 exec, exec, s[26:27]
	v_and_b32_e32 v3, 32, v62
	v_cmp_ne_u32_e32 vcc, 0, v3
	s_and_saveexec_b64 s[26:27], vcc
	s_cbranch_execz .LBB2_1022
; %bb.1158:                             ;   in Loop: Header=BB2_1023 Depth=2
	v_add_co_u32_e32 v32, vcc, 2, v32
	v_addc_co_u32_e32 v33, vcc, 0, v33, vcc
	flat_store_dwordx2 v[34:35], v[32:33]
	s_branch .LBB2_1022
.LBB2_1159:                             ;   in Loop: Header=BB2_47 Depth=1
	s_or_b64 exec, exec, s[30:31]
.LBB2_1160:                             ;   in Loop: Header=BB2_47 Depth=1
	s_or_b64 exec, exec, s[28:29]
	v_cmp_gt_i32_e32 vcc, 2, v3
	s_and_saveexec_b64 s[28:29], vcc
	s_cbranch_execz .LBB2_46
; %bb.1161:                             ;   in Loop: Header=BB2_47 Depth=1
	v_cmp_eq_u32_e64 s[26:27], 0, v3
	s_mov_b64 s[30:31], 0
	s_branch .LBB2_1163
.LBB2_1162:                             ;   in Loop: Header=BB2_1163 Depth=2
	s_or_b64 exec, exec, s[26:27]
	v_add_u32_e32 v2, v13, v2
	s_mov_b64 s[26:27], 0
	s_andn2_b64 exec, exec, s[30:31]
	s_cbranch_execz .LBB2_45
.LBB2_1163:                             ;   Parent Loop BB2_47 Depth=1
                                        ; =>  This Loop Header: Depth=2
                                        ;       Child Loop BB2_1169 Depth 3
                                        ;       Child Loop BB2_1193 Depth 3
	;; [unrolled: 1-line block ×3, first 2 shown]
	v_and_b32_e32 v3, 4, v62
	s_mov_b64 s[36:37], -1
	v_cmp_ne_u32_e32 vcc, 0, v3
	s_and_saveexec_b64 s[34:35], vcc
	s_cbranch_execz .LBB2_1175
; %bb.1164:                             ;   in Loop: Header=BB2_1163 Depth=2
	v_add_co_u32_e32 v4, vcc, 2, v32
	v_addc_co_u32_e32 v5, vcc, 0, v33, vcc
	v_cmp_lt_u64_e32 vcc, v[50:51], v[4:5]
	v_mov_b32_e32 v3, 1
	s_and_saveexec_b64 s[36:37], vcc
	s_cbranch_execz .LBB2_1174
; %bb.1165:                             ;   in Loop: Header=BB2_1163 Depth=2
	s_mov_b64 s[38:39], 0
	v_mov_b32_e32 v3, 0
                                        ; implicit-def: $sgpr40_sgpr41
	s_branch .LBB2_1169
.LBB2_1166:                             ;   in Loop: Header=BB2_1169 Depth=3
	s_or_b64 exec, exec, s[62:63]
	v_mov_b32_e32 v8, 0
	s_orn2_b64 s[60:61], s[60:61], exec
.LBB2_1167:                             ;   in Loop: Header=BB2_1169 Depth=3
	s_or_b64 exec, exec, s[44:45]
	s_andn2_b64 vcc, s[40:41], exec
	s_and_b64 s[40:41], s[60:61], exec
	s_or_b64 s[40:41], vcc, s[40:41]
	v_mov_b32_e32 v3, v8
.LBB2_1168:                             ;   in Loop: Header=BB2_1169 Depth=3
	s_or_b64 exec, exec, s[42:43]
	s_waitcnt vmcnt(0) lgkmcnt(0)
	v_cmp_ge_u64_e32 vcc, v[50:51], v[4:5]
	s_xor_b64 s[42:43], s[40:41], -1
	s_or_b64 vcc, s[42:43], vcc
	s_and_b64 vcc, exec, vcc
	s_or_b64 s[38:39], vcc, s[38:39]
	s_andn2_b64 exec, exec, s[38:39]
	s_cbranch_execz .LBB2_1173
.LBB2_1169:                             ;   Parent Loop BB2_47 Depth=1
                                        ;     Parent Loop BB2_1163 Depth=2
                                        ; =>    This Inner Loop Header: Depth=3
	s_sleep 1
	flat_load_dwordx2 v[50:51], v[34:35] glc
	v_and_b32_e32 v8, 64, v62
	v_cmp_eq_u32_e32 vcc, 0, v8
	s_andn2_b64 s[40:41], s[40:41], exec
	s_and_saveexec_b64 s[42:43], vcc
	s_cbranch_execz .LBB2_1168
; %bb.1170:                             ;   in Loop: Header=BB2_1169 Depth=3
	v_add_u32_e32 v8, 1, v3
	v_cmp_lt_i32_e32 vcc, s83, v3
	s_mov_b64 s[60:61], -1
	s_and_saveexec_b64 s[44:45], vcc
	s_cbranch_execz .LBB2_1167
; %bb.1171:                             ;   in Loop: Header=BB2_1169 Depth=3
	s_trap 2
	ds_read_b64 v[8:9], v0
	s_waitcnt vmcnt(0) lgkmcnt(0)
	flat_load_dword v3, v[8:9] glc
	s_waitcnt vmcnt(0) lgkmcnt(0)
	buffer_invl2
	buffer_wbinvl1_vol
	v_cmp_ne_u32_e32 vcc, 0, v3
	s_and_saveexec_b64 s[62:63], vcc
	s_cbranch_execz .LBB2_1166
; %bb.1172:                             ;   in Loop: Header=BB2_1169 Depth=3
	v_or_b32_e32 v62, 64, v62
	s_xor_b64 s[60:61], exec, -1
	ds_write_b32 v0, v3
	s_trap 2
	s_branch .LBB2_1166
.LBB2_1173:                             ;   in Loop: Header=BB2_1163 Depth=2
	s_or_b64 exec, exec, s[38:39]
	v_and_b32_e32 v3, 4, v62
.LBB2_1174:                             ;   in Loop: Header=BB2_1163 Depth=2
	s_or_b64 exec, exec, s[36:37]
	v_cmp_eq_u32_e32 vcc, 0, v3
	s_orn2_b64 s[36:37], vcc, exec
	;;#ASMSTART
	s_wakeup
	;;#ASMEND
.LBB2_1175:                             ;   in Loop: Header=BB2_1163 Depth=2
	s_or_b64 exec, exec, s[34:35]
	s_xor_b64 s[26:27], s[26:27], -1
	s_and_b64 s[26:27], exec, s[26:27]
	s_or_b64 s[30:31], s[26:27], s[30:31]
	s_xor_b64 s[26:27], s[36:37], -1
	s_and_saveexec_b64 s[34:35], s[26:27]
	s_cbranch_execz .LBB2_1185
; %bb.1176:                             ;   in Loop: Header=BB2_1163 Depth=2
	v_and_b32_e32 v3, 0x100, v62
	v_cmp_ne_u32_e32 vcc, 0, v3
	v_and_b32_e32 v3, 7, v32
	s_mov_b64 s[26:27], -1
                                        ; implicit-def: $vgpr4_vgpr5
	s_and_saveexec_b64 s[36:37], vcc
	s_cbranch_execz .LBB2_1180
; %bb.1177:                             ;   in Loop: Header=BB2_1163 Depth=2
	v_mad_u64_u32 v[8:9], s[26:27], v3, 24, v[38:39]
	flat_load_dword v4, v[8:9]
	s_waitcnt vmcnt(0) lgkmcnt(0)
	v_cmp_ne_u32_e32 vcc, 1, v4
	v_cmp_eq_u32_e64 s[26:27], 1, v4
                                        ; implicit-def: $vgpr4_vgpr5
	s_and_saveexec_b64 s[38:39], s[26:27]
	s_cbranch_execz .LBB2_1179
; %bb.1178:                             ;   in Loop: Header=BB2_1163 Depth=2
	flat_load_dword v4, v[8:9] offset:4 glc
	s_waitcnt vmcnt(0) lgkmcnt(0)
	v_ashrrev_i32_e32 v5, 31, v4
	v_lshrrev_b64 v[4:5], 2, v[4:5]
.LBB2_1179:                             ;   in Loop: Header=BB2_1163 Depth=2
	s_or_b64 exec, exec, s[38:39]
	s_orn2_b64 s[26:27], vcc, exec
.LBB2_1180:                             ;   in Loop: Header=BB2_1163 Depth=2
	s_or_b64 exec, exec, s[36:37]
	s_and_saveexec_b64 vcc, s[26:27]
; %bb.1181:                             ;   in Loop: Header=BB2_1163 Depth=2
	v_mad_i64_i32 v[4:5], s[26:27], v3, v30, 0
; %bb.1182:                             ;   in Loop: Header=BB2_1163 Depth=2
	s_or_b64 exec, exec, vcc
	v_lshlrev_b64 v[4:5], 2, v[4:5]
	v_add_co_u32_e32 v4, vcc, v36, v4
	v_addc_co_u32_e32 v5, vcc, v37, v5, vcc
	v_and_b32_e32 v3, 0x2000, v62
	v_cmp_ne_u32_e32 vcc, 0, v3
	ds_write_b64 v0, v[4:5] offset:720
	s_and_saveexec_b64 s[26:27], vcc
	s_cbranch_execz .LBB2_1184
; %bb.1183:                             ;   in Loop: Header=BB2_1163 Depth=2
	ds_read_b64 v[4:5], v0 offset:584
	s_waitcnt lgkmcnt(0)
	v_add_co_u32_e32 v4, vcc, 1, v4
	v_addc_co_u32_e32 v5, vcc, 0, v5, vcc
	ds_write_b64 v0, v[4:5] offset:584
.LBB2_1184:                             ;   in Loop: Header=BB2_1163 Depth=2
	s_or_b64 exec, exec, s[26:27]
	v_add_co_u32_e32 v32, vcc, 2, v32
	v_addc_co_u32_e32 v33, vcc, 0, v33, vcc
.LBB2_1185:                             ;   in Loop: Header=BB2_1163 Depth=2
	s_or_b64 exec, exec, s[34:35]
	s_and_saveexec_b64 s[26:27], s[10:11]
	s_cbranch_execz .LBB2_1204
; %bb.1186:                             ;   in Loop: Header=BB2_1163 Depth=2
	s_and_saveexec_b64 vcc, s[52:53]
	s_xor_b64 s[34:35], exec, vcc
	s_cbranch_execz .LBB2_1201
; %bb.1187:                             ;   in Loop: Header=BB2_1163 Depth=2
	s_and_saveexec_b64 s[36:37], s[16:17]
	s_cbranch_execz .LBB2_1200
; %bb.1188:                             ;   in Loop: Header=BB2_1163 Depth=2
	s_mov_b64 s[40:41], exec
	v_mbcnt_lo_u32_b32 v3, s40, 0
	v_mbcnt_hi_u32_b32 v3, s41, v3
	v_cmp_eq_u32_e32 vcc, 0, v3
	s_waitcnt vmcnt(0) lgkmcnt(0)
	buffer_wbinvl1_vol
	s_and_saveexec_b64 s[38:39], vcc
	s_cbranch_execz .LBB2_1190
; %bb.1189:                             ;   in Loop: Header=BB2_1163 Depth=2
	s_bcnt1_i32_b64 vcc_lo, s[40:41]
	v_mov_b32_e32 v4, vcc_lo
	v_mov_b32_e32 v5, v52
	ds_add_u64 v0, v[4:5]
	s_trap 2
.LBB2_1190:                             ;   in Loop: Header=BB2_1163 Depth=2
	s_or_b64 exec, exec, s[38:39]
	s_trap 2
	ds_read_b64 v[4:5], v0
	v_add_co_u32_e32 v48, vcc, v48, v54
	v_addc_co_u32_e32 v49, vcc, 0, v49, vcc
	s_waitcnt lgkmcnt(0)
	v_cmp_lt_u64_e32 vcc, v[4:5], v[48:49]
	s_and_saveexec_b64 s[38:39], vcc
	s_cbranch_execz .LBB2_1199
; %bb.1191:                             ;   in Loop: Header=BB2_1163 Depth=2
	s_mov_b32 s64, 0
	s_mov_b64 s[40:41], 0
                                        ; implicit-def: $sgpr42_sgpr43
                                        ; implicit-def: $sgpr44_sgpr45
	s_branch .LBB2_1193
.LBB2_1192:                             ;   in Loop: Header=BB2_1193 Depth=3
	s_or_b64 exec, exec, s[62:63]
	s_and_b64 vcc, exec, vcc
	s_or_b64 s[40:41], vcc, s[40:41]
	s_andn2_b64 vcc, s[42:43], exec
	s_and_b64 s[42:43], s[44:45], exec
	s_or_b64 s[42:43], vcc, s[42:43]
	s_andn2_b64 exec, exec, s[40:41]
	s_cbranch_execz .LBB2_1197
.LBB2_1193:                             ;   Parent Loop BB2_47 Depth=1
                                        ;     Parent Loop BB2_1163 Depth=2
                                        ; =>    This Inner Loop Header: Depth=3
	s_add_i32 s64, s64, 1
	s_cmpk_lg_i32 s64, 0x2710
	s_cselect_b64 s[60:61], -1, 0
	s_and_b64 vcc, exec, s[60:61]
                                        ; implicit-def: $sgpr62_sgpr63
	s_cbranch_vccnz .LBB2_1195
; %bb.1194:                             ;   in Loop: Header=BB2_1193 Depth=3
	s_trap 2
	ds_read_b64 v[4:5], v0
	s_andn2_b64 s[60:61], s[60:61], exec
	s_mov_b32 s64, 0
	s_mov_b64 s[62:63], -1
	s_waitcnt lgkmcnt(0)
	flat_load_dword v3, v[4:5] glc
	s_waitcnt vmcnt(0) lgkmcnt(0)
	buffer_invl2
	buffer_wbinvl1_vol
	v_cmp_eq_u32_e32 vcc, 0, v3
	s_and_b64 vcc, vcc, exec
	s_or_b64 s[60:61], s[60:61], vcc
.LBB2_1195:                             ;   in Loop: Header=BB2_1193 Depth=3
	s_andn2_b64 s[44:45], s[44:45], exec
	s_and_b64 s[62:63], s[62:63], exec
	s_mov_b64 vcc, -1
	s_or_b64 s[44:45], s[44:45], s[62:63]
	s_and_saveexec_b64 s[62:63], s[60:61]
	s_cbranch_execz .LBB2_1192
; %bb.1196:                             ;   in Loop: Header=BB2_1193 Depth=3
	s_sleep 1
	s_trap 2
	ds_read_b64 v[4:5], v0
	s_andn2_b64 s[44:45], s[44:45], exec
	s_waitcnt lgkmcnt(0)
	v_cmp_ge_u64_e32 vcc, v[4:5], v[48:49]
	s_orn2_b64 vcc, vcc, exec
	s_branch .LBB2_1192
.LBB2_1197:                             ;   in Loop: Header=BB2_1163 Depth=2
	s_or_b64 exec, exec, s[40:41]
	s_and_saveexec_b64 vcc, s[42:43]
	s_xor_b64 vcc, exec, vcc
	s_cbranch_execz .LBB2_1199
; %bb.1198:                             ;   in Loop: Header=BB2_1163 Depth=2
	ds_write_b32 v0, v26
	s_trap 2
.LBB2_1199:                             ;   in Loop: Header=BB2_1163 Depth=2
	s_or_b64 exec, exec, s[38:39]
	;;#ASMSTART
	s_wakeup
	;;#ASMEND
.LBB2_1200:                             ;   in Loop: Header=BB2_1163 Depth=2
	s_or_b64 exec, exec, s[36:37]
.LBB2_1201:                             ;   in Loop: Header=BB2_1163 Depth=2
	s_andn2_saveexec_b64 vcc, s[34:35]
	s_cbranch_execz .LBB2_1203
; %bb.1202:                             ;   in Loop: Header=BB2_1163 Depth=2
	s_waitcnt vmcnt(0) lgkmcnt(0)
	buffer_wbinvl1_vol
	s_barrier
.LBB2_1203:                             ;   in Loop: Header=BB2_1163 Depth=2
	s_or_b64 exec, exec, vcc
.LBB2_1204:                             ;   in Loop: Header=BB2_1163 Depth=2
	s_or_b64 exec, exec, s[26:27]
	v_sub_u32_e32 v3, v12, v2
	v_min_i32_e32 v13, v13, v3
	s_and_saveexec_b64 s[26:27], s[24:25]
	s_xor_b64 s[26:27], exec, s[26:27]
	s_cbranch_execz .LBB2_1208
; %bb.1205:                             ;   in Loop: Header=BB2_1163 Depth=2
	s_trap 2
	ds_read_b32 v3, v0
	v_cmp_lt_i32_e32 vcc, 0, v13
	v_and_b32_e32 v4, 16, v62
	s_waitcnt lgkmcnt(0)
	v_readfirstlane_b32 s34, v3
	s_cmp_eq_u32 s34, 0
	s_cselect_b64 s[34:35], -1, 0
	s_and_b64 s[34:35], vcc, s[34:35]
	v_cmp_ne_u32_e32 vcc, 0, v4
	s_and_b64 s[34:35], vcc, s[34:35]
	s_and_saveexec_b64 vcc, s[34:35]
	s_cbranch_execz .LBB2_1207
; %bb.1206:                             ;   in Loop: Header=BB2_1163 Depth=2
	s_waitcnt vmcnt(0)
	buffer_wbinvl1_vol
.LBB2_1207:                             ;   in Loop: Header=BB2_1163 Depth=2
	s_or_b64 exec, exec, vcc
.LBB2_1208:                             ;   in Loop: Header=BB2_1163 Depth=2
	s_andn2_saveexec_b64 s[26:27], s[26:27]
	s_cbranch_execz .LBB2_1227
; %bb.1209:                             ;   in Loop: Header=BB2_1163 Depth=2
	s_and_saveexec_b64 vcc, s[52:53]
	s_xor_b64 s[34:35], exec, vcc
	s_cbranch_execz .LBB2_1224
; %bb.1210:                             ;   in Loop: Header=BB2_1163 Depth=2
	s_and_saveexec_b64 s[36:37], s[16:17]
	s_cbranch_execz .LBB2_1223
; %bb.1211:                             ;   in Loop: Header=BB2_1163 Depth=2
	s_mov_b64 s[40:41], exec
	v_mbcnt_lo_u32_b32 v3, s40, 0
	v_mbcnt_hi_u32_b32 v3, s41, v3
	v_cmp_eq_u32_e32 vcc, 0, v3
	;;#ASMSTART
	s_waitcnt lgkmcnt(0) vmcnt(0)
	;;#ASMEND
	s_and_saveexec_b64 s[38:39], vcc
	s_cbranch_execz .LBB2_1213
; %bb.1212:                             ;   in Loop: Header=BB2_1163 Depth=2
	s_bcnt1_i32_b64 vcc_lo, s[40:41]
	v_mov_b32_e32 v4, vcc_lo
	v_mov_b32_e32 v5, v52
	ds_add_u64 v0, v[4:5]
	s_trap 2
.LBB2_1213:                             ;   in Loop: Header=BB2_1163 Depth=2
	s_or_b64 exec, exec, s[38:39]
	s_trap 2
	ds_read_b64 v[4:5], v0
	v_add_co_u32_e32 v48, vcc, v48, v54
	v_addc_co_u32_e32 v49, vcc, 0, v49, vcc
	s_waitcnt lgkmcnt(0)
	v_cmp_lt_u64_e32 vcc, v[4:5], v[48:49]
	s_and_saveexec_b64 s[38:39], vcc
	s_cbranch_execz .LBB2_1222
; %bb.1214:                             ;   in Loop: Header=BB2_1163 Depth=2
	s_mov_b32 s64, 0
	s_mov_b64 s[40:41], 0
                                        ; implicit-def: $sgpr42_sgpr43
                                        ; implicit-def: $sgpr44_sgpr45
	s_branch .LBB2_1216
.LBB2_1215:                             ;   in Loop: Header=BB2_1216 Depth=3
	s_or_b64 exec, exec, s[62:63]
	s_and_b64 vcc, exec, vcc
	s_or_b64 s[40:41], vcc, s[40:41]
	s_andn2_b64 vcc, s[42:43], exec
	s_and_b64 s[42:43], s[44:45], exec
	s_or_b64 s[42:43], vcc, s[42:43]
	s_andn2_b64 exec, exec, s[40:41]
	s_cbranch_execz .LBB2_1220
.LBB2_1216:                             ;   Parent Loop BB2_47 Depth=1
                                        ;     Parent Loop BB2_1163 Depth=2
                                        ; =>    This Inner Loop Header: Depth=3
	s_add_i32 s64, s64, 1
	s_cmpk_lg_i32 s64, 0x2710
	s_cselect_b64 s[60:61], -1, 0
	s_and_b64 vcc, exec, s[60:61]
                                        ; implicit-def: $sgpr62_sgpr63
	s_cbranch_vccnz .LBB2_1218
; %bb.1217:                             ;   in Loop: Header=BB2_1216 Depth=3
	s_trap 2
	ds_read_b64 v[4:5], v0
	s_andn2_b64 s[60:61], s[60:61], exec
	s_mov_b32 s64, 0
	s_mov_b64 s[62:63], -1
	s_waitcnt vmcnt(0) lgkmcnt(0)
	flat_load_dword v3, v[4:5] glc
	s_waitcnt vmcnt(0) lgkmcnt(0)
	buffer_invl2
	buffer_wbinvl1_vol
	v_cmp_eq_u32_e32 vcc, 0, v3
	s_and_b64 vcc, vcc, exec
	s_or_b64 s[60:61], s[60:61], vcc
.LBB2_1218:                             ;   in Loop: Header=BB2_1216 Depth=3
	s_andn2_b64 s[44:45], s[44:45], exec
	s_and_b64 s[62:63], s[62:63], exec
	s_mov_b64 vcc, -1
	s_or_b64 s[44:45], s[44:45], s[62:63]
	s_and_saveexec_b64 s[62:63], s[60:61]
	s_cbranch_execz .LBB2_1215
; %bb.1219:                             ;   in Loop: Header=BB2_1216 Depth=3
	s_sleep 1
	s_trap 2
	ds_read_b64 v[4:5], v0
	s_andn2_b64 s[44:45], s[44:45], exec
	s_waitcnt lgkmcnt(0)
	v_cmp_ge_u64_e32 vcc, v[4:5], v[48:49]
	s_orn2_b64 vcc, vcc, exec
	s_branch .LBB2_1215
.LBB2_1220:                             ;   in Loop: Header=BB2_1163 Depth=2
	s_or_b64 exec, exec, s[40:41]
	s_and_saveexec_b64 vcc, s[42:43]
	s_xor_b64 vcc, exec, vcc
	s_cbranch_execz .LBB2_1222
; %bb.1221:                             ;   in Loop: Header=BB2_1163 Depth=2
	ds_write_b32 v0, v26
	s_trap 2
.LBB2_1222:                             ;   in Loop: Header=BB2_1163 Depth=2
	s_or_b64 exec, exec, s[38:39]
	;;#ASMSTART
	s_wakeup
	;;#ASMEND
.LBB2_1223:                             ;   in Loop: Header=BB2_1163 Depth=2
	s_or_b64 exec, exec, s[36:37]
.LBB2_1224:                             ;   in Loop: Header=BB2_1163 Depth=2
	s_andn2_saveexec_b64 vcc, s[34:35]
	s_cbranch_execz .LBB2_1226
; %bb.1225:                             ;   in Loop: Header=BB2_1163 Depth=2
	;;#ASMSTART
	s_waitcnt lgkmcnt(0) vmcnt(0)
	;;#ASMEND
	s_barrier
.LBB2_1226:                             ;   in Loop: Header=BB2_1163 Depth=2
	s_or_b64 exec, exec, vcc
.LBB2_1227:                             ;   in Loop: Header=BB2_1163 Depth=2
	s_or_b64 exec, exec, s[26:27]
	v_and_b32_e32 v3, 32, v62
	v_cmp_ne_u32_e32 vcc, 0, v3
	s_and_saveexec_b64 s[26:27], vcc
	s_cbranch_execz .LBB2_1162
; %bb.1228:                             ;   in Loop: Header=BB2_1163 Depth=2
	v_add_co_u32_e32 v32, vcc, 2, v32
	v_addc_co_u32_e32 v33, vcc, 0, v33, vcc
	flat_store_dwordx2 v[34:35], v[32:33]
	s_branch .LBB2_1162
.LBB2_1229:
	s_or_b64 exec, exec, s[50:51]
	v_accvgpr_read_b32 v21, a11
	v_accvgpr_read_b32 v18, a0
	v_accvgpr_read_b32 v31, a1
	v_accvgpr_read_b32 v19, a2
	v_accvgpr_read_b32 v20, a10
.LBB2_1230:
	s_or_b64 exec, exec, s[48:49]
	v_and_b32_e32 v0, 0x800, v62
	v_cmp_eq_u32_e32 vcc, 0, v0
	s_and_saveexec_b64 s[4:5], vcc
	s_cbranch_execz .LBB2_1265
; %bb.1231:
	v_and_b32_e32 v0, 48, v62
	v_cmp_ne_u32_e32 vcc, 0, v0
	s_and_saveexec_b64 s[6:7], vcc
	s_cbranch_execz .LBB2_1233
; %bb.1232:
	flat_store_dwordx2 v[20:21], v[32:33] offset:104
.LBB2_1233:
	s_or_b64 exec, exec, s[6:7]
	s_movk_i32 s6, 0x88
	v_and_b32_e32 v0, 0x88, v62
	v_cmp_eq_u32_e32 vcc, s6, v0
	s_and_saveexec_b64 s[6:7], vcc
	s_cbranch_execz .LBB2_1245
; %bb.1234:
	v_add_u32_e32 v0, 6, v32
	v_and_b32_e32 v0, 7, v0
	v_mad_u64_u32 v[0:1], s[10:11], v0, 24, v[38:39]
	v_add_co_u32_e32 v2, vcc, 8, v0
	v_addc_co_u32_e32 v3, vcc, 0, v1, vcc
	s_mov_b64 s[10:11], 0
	v_mov_b32_e32 v0, 0
	s_movk_i32 s24, 0x270e
                                        ; implicit-def: $sgpr12_sgpr13
	s_branch .LBB2_1239
.LBB2_1235:                             ;   in Loop: Header=BB2_1239 Depth=1
	s_or_b64 exec, exec, s[22:23]
	v_mov_b32_e32 v1, 0
	s_orn2_b64 s[20:21], s[20:21], exec
.LBB2_1236:                             ;   in Loop: Header=BB2_1239 Depth=1
	s_or_b64 exec, exec, s[18:19]
	s_and_b64 s[18:19], s[20:21], exec
	v_mov_b32_e32 v0, v1
.LBB2_1237:                             ;   in Loop: Header=BB2_1239 Depth=1
	s_or_b64 exec, exec, s[16:17]
	s_xor_b64 s[16:17], s[18:19], -1
	s_andn2_b64 s[12:13], s[12:13], exec
	s_and_b64 s[16:17], s[16:17], exec
	s_or_b64 s[12:13], s[12:13], s[16:17]
.LBB2_1238:                             ;   in Loop: Header=BB2_1239 Depth=1
	s_or_b64 exec, exec, s[14:15]
	s_and_b64 s[14:15], exec, s[12:13]
	s_or_b64 s[10:11], s[14:15], s[10:11]
	s_andn2_b64 exec, exec, s[10:11]
	s_cbranch_execz .LBB2_1244
.LBB2_1239:                             ; =>This Inner Loop Header: Depth=1
	flat_load_dwordx2 v[4:5], v[2:3] glc
	s_waitcnt vmcnt(0)
	s_or_b64 s[12:13], s[12:13], exec
	s_waitcnt lgkmcnt(0)
	v_cmp_ne_u64_e32 vcc, -1, v[4:5]
	s_and_saveexec_b64 s[14:15], vcc
	s_cbranch_execz .LBB2_1238
; %bb.1240:                             ;   in Loop: Header=BB2_1239 Depth=1
	v_and_b32_e32 v1, 64, v62
	v_cmp_eq_u32_e32 vcc, 0, v1
	s_mov_b64 s[18:19], 0
	s_and_saveexec_b64 s[16:17], vcc
	s_cbranch_execz .LBB2_1237
; %bb.1241:                             ;   in Loop: Header=BB2_1239 Depth=1
	v_add_u32_e32 v1, 1, v0
	v_cmp_lt_i32_e32 vcc, s24, v0
	s_mov_b64 s[20:21], -1
	s_and_saveexec_b64 s[18:19], vcc
	s_cbranch_execz .LBB2_1236
; %bb.1242:                             ;   in Loop: Header=BB2_1239 Depth=1
	s_trap 2
	ds_read_b64 v[0:1], v0
	s_waitcnt lgkmcnt(0)
	flat_load_dword v0, v[0:1] glc
	s_waitcnt vmcnt(0) lgkmcnt(0)
	buffer_invl2
	buffer_wbinvl1_vol
	v_cmp_ne_u32_e32 vcc, 0, v0
	s_and_saveexec_b64 s[22:23], vcc
	s_cbranch_execz .LBB2_1235
; %bb.1243:                             ;   in Loop: Header=BB2_1239 Depth=1
	v_or_b32_e32 v62, 64, v62
	s_xor_b64 s[20:21], exec, -1
	ds_write_b32 v0, v0
	s_trap 2
	s_branch .LBB2_1235
.LBB2_1244:
	s_or_b64 exec, exec, s[10:11]
.LBB2_1245:
	s_or_b64 exec, exec, s[6:7]
	v_and_b32_e32 v0, 0x2000, v62
	v_cmp_ne_u32_e32 vcc, 0, v0
	s_and_saveexec_b64 s[6:7], vcc
	s_cbranch_execz .LBB2_1247
; %bb.1246:
	s_trap 2
	ds_read_b64 v[0:1], v0
	v_accvgpr_read_b32 v2, a8
	v_accvgpr_read_b32 v3, a9
	s_waitcnt lgkmcnt(0)
	flat_store_dwordx2 v[2:3], v[0:1] offset:16
.LBB2_1247:
	s_or_b64 exec, exec, s[6:7]
	v_cmp_ne_u32_e32 vcc, 64, v18
	s_and_b64 exec, exec, vcc
	s_cbranch_execz .LBB2_1265
; %bb.1248:
	v_cmp_ne_u32_sdwa s[6:7], v19, v18 src0_sel:WORD_0 src1_sel:DWORD
	s_and_saveexec_b64 s[10:11], s[6:7]
	s_xor_b64 s[6:7], exec, s[10:11]
	s_cbranch_execz .LBB2_1263
; %bb.1249:
	v_and_b32_e32 v0, 63, v31
	v_cmp_eq_u32_e32 vcc, 0, v0
	s_and_saveexec_b64 s[10:11], vcc
	s_cbranch_execz .LBB2_1262
; %bb.1250:
	s_mov_b64 s[14:15], exec
	v_mbcnt_lo_u32_b32 v0, s14, 0
	v_mbcnt_hi_u32_b32 v0, s15, v0
	v_cmp_eq_u32_e32 vcc, 0, v0
	s_waitcnt vmcnt(0) lgkmcnt(0)
	buffer_wbinvl1_vol
	s_and_saveexec_b64 s[12:13], vcc
	s_cbranch_execz .LBB2_1252
; %bb.1251:
	s_bcnt1_i32_b64 s14, s[14:15]
	v_mov_b32_e32 v0, s14
	v_mov_b32_e32 v1, 0
	ds_add_u64 v0, v[0:1]
	s_trap 2
.LBB2_1252:
	s_or_b64 exec, exec, s[12:13]
	v_ashrrev_i32_e32 v0, 31, v18
	v_lshrrev_b32_e32 v0, 26, v0
	v_add_u32_e32 v0, v18, v0
	v_ashrrev_i32_e32 v0, 6, v0
	s_trap 2
	ds_read_b64 v[2:3], v0
	v_ashrrev_i32_e32 v1, 31, v0
	v_add_co_u32_e32 v0, vcc, v48, v0
	v_addc_co_u32_e32 v1, vcc, v49, v1, vcc
	s_waitcnt lgkmcnt(0)
	v_cmp_lt_u64_e32 vcc, v[2:3], v[0:1]
	s_and_saveexec_b64 s[12:13], vcc
	s_cbranch_execz .LBB2_1261
; %bb.1253:
	s_mov_b32 s26, 0
	s_mov_b64 s[14:15], 0
                                        ; implicit-def: $sgpr16_sgpr17
                                        ; implicit-def: $sgpr18_sgpr19
	s_branch .LBB2_1255
.LBB2_1254:                             ;   in Loop: Header=BB2_1255 Depth=1
	s_or_b64 exec, exec, s[24:25]
	s_and_b64 s[20:21], exec, s[22:23]
	s_or_b64 s[14:15], s[20:21], s[14:15]
	s_andn2_b64 s[16:17], s[16:17], exec
	s_and_b64 s[20:21], s[18:19], exec
	s_or_b64 s[16:17], s[16:17], s[20:21]
	s_andn2_b64 exec, exec, s[14:15]
	s_cbranch_execz .LBB2_1259
.LBB2_1255:                             ; =>This Inner Loop Header: Depth=1
	s_add_i32 s26, s26, 1
	s_cmpk_lg_i32 s26, 0x2710
	s_cselect_b64 s[20:21], -1, 0
	s_and_b64 vcc, exec, s[20:21]
                                        ; implicit-def: $sgpr24_sgpr25
	s_cbranch_vccnz .LBB2_1257
; %bb.1256:                             ;   in Loop: Header=BB2_1255 Depth=1
	s_trap 2
	ds_read_b64 v[2:3], v0
	s_andn2_b64 s[20:21], s[20:21], exec
	s_mov_b32 s26, 0
	s_mov_b64 s[24:25], -1
	s_waitcnt lgkmcnt(0)
	flat_load_dword v2, v[2:3] glc
	s_waitcnt vmcnt(0) lgkmcnt(0)
	buffer_invl2
	buffer_wbinvl1_vol
	v_cmp_eq_u32_e32 vcc, 0, v2
	s_and_b64 s[22:23], vcc, exec
	s_or_b64 s[20:21], s[20:21], s[22:23]
.LBB2_1257:                             ;   in Loop: Header=BB2_1255 Depth=1
	s_andn2_b64 s[18:19], s[18:19], exec
	s_and_b64 s[24:25], s[24:25], exec
	s_mov_b64 s[22:23], -1
	s_or_b64 s[18:19], s[18:19], s[24:25]
	s_and_saveexec_b64 s[24:25], s[20:21]
	s_cbranch_execz .LBB2_1254
; %bb.1258:                             ;   in Loop: Header=BB2_1255 Depth=1
	s_sleep 1
	s_trap 2
	ds_read_b64 v[2:3], v0
	s_andn2_b64 s[18:19], s[18:19], exec
	s_waitcnt lgkmcnt(0)
	v_cmp_ge_u64_e32 vcc, v[2:3], v[0:1]
	s_orn2_b64 s[22:23], vcc, exec
	s_branch .LBB2_1254
.LBB2_1259:
	s_or_b64 exec, exec, s[14:15]
	s_and_saveexec_b64 s[14:15], s[16:17]
	s_xor_b64 s[14:15], exec, s[14:15]
	s_cbranch_execz .LBB2_1261
; %bb.1260:
	v_mov_b32_e32 v0, 1
	ds_write_b32 v0, v0
	s_trap 2
.LBB2_1261:
	s_or_b64 exec, exec, s[12:13]
	;;#ASMSTART
	s_wakeup
	;;#ASMEND
.LBB2_1262:
	s_or_b64 exec, exec, s[10:11]
.LBB2_1263:
	s_andn2_saveexec_b64 s[6:7], s[6:7]
	s_cbranch_execz .LBB2_1265
; %bb.1264:
	s_waitcnt vmcnt(0) lgkmcnt(0)
	buffer_wbinvl1_vol
	s_barrier
.LBB2_1265:
	s_or_b64 exec, exec, s[4:5]
.LBB2_1266:
	s_andn2_saveexec_b64 s[26:27], s[46:47]
	s_cbranch_execz .LBB2_1268
; %bb.1267:
	s_getpc_b64 s[4:5]
	s_add_u32 s4, s4, __PRETTY_FUNCTION__._ZN10PrimitivesIj14FuncSumPostDivIjE12FanSymmetricILi1EELi0E11ProtoSimpleILi2ELi2ELi0ELi1ELi0ELi0EELi0ELb0ELi0ELi0ELi0EEC2EiiPKiS8_PKvPvmhhhP15ncclDevWorkCollP14ncclDevWorkP2pii@rel32@lo+4
	s_addc_u32 s5, s5, __PRETTY_FUNCTION__._ZN10PrimitivesIj14FuncSumPostDivIjE12FanSymmetricILi1EELi0E11ProtoSimpleILi2ELi2ELi0ELi1ELi0ELi0EELi0ELb0ELi0ELi0ELi0EEC2EiiPKiS8_PKvPvmhhhP15ncclDevWorkCollP14ncclDevWorkP2pii@rel32@hi+12
	v_mov_b32_e32 v0, s4
	v_mov_b32_e32 v1, s5
	s_getpc_b64 s[6:7]
	s_add_u32 s6, s6, __assert_fail@rel32@lo+4
	s_addc_u32 s7, s7, __assert_fail@rel32@hi+12
	s_swappc_b64 s[30:31], s[6:7]
	; divergent unreachable
.LBB2_1268:
	s_or_b64 exec, exec, s[26:27]
	buffer_load_dword a41, off, s[0:3], s33 ; 4-byte Folded Reload
	buffer_load_dword a40, off, s[0:3], s33 offset:4 ; 4-byte Folded Reload
	buffer_load_dword a39, off, s[0:3], s33 offset:8 ; 4-byte Folded Reload
	;; [unrolled: 1-line block ×16, first 2 shown]
	s_waitcnt lgkmcnt(0)
	buffer_load_dword v47, off, s[0:3], s33 offset:68 ; 4-byte Folded Reload
	buffer_load_dword v46, off, s[0:3], s33 offset:72 ; 4-byte Folded Reload
	;; [unrolled: 1-line block ×8, first 2 shown]
	v_readlane_b32 s30, v63, 54
	v_readlane_b32 s31, v63, 55
	;; [unrolled: 1-line block ×57, first 2 shown]
	s_or_saveexec_b64 s[6:7], -1
	buffer_load_dword v63, off, s[0:3], s33 offset:100 ; 4-byte Folded Reload
	s_mov_b64 exec, s[6:7]
	s_addk_i32 s32, 0xe400
	s_mov_b32 s33, s4
	s_waitcnt vmcnt(0)
	s_setpc_b64 s[30:31]
.Lfunc_end2:
	.size	_ZN12_GLOBAL__N_17runRingIj14FuncSumPostDivIjE11ProtoSimpleILi2ELi2ELi0ELi1ELi0ELi0EELi0ELi0ELi1ELi0EEEviiP15ncclDevWorkColl, .Lfunc_end2-_ZN12_GLOBAL__N_17runRingIj14FuncSumPostDivIjE11ProtoSimpleILi2ELi2ELi0ELi1ELi0ELi0EELi0ELi0ELi1ELi0EEEviiP15ncclDevWorkColl
                                        ; -- End function
	.section	.AMDGPU.csdata,"",@progbits
; Function info:
; codeLenInByte = 41532
; NumSgprs: 92
; NumVgprs: 64
; NumAgprs: 42
; TotalNumVgprs: 106
; ScratchSize: 176
; MemoryBound: 1
	.text
	.p2align	2                               ; -- Begin function _Z54ncclDevFunc_AllReduce_RING_SIMPLE_SumPostDiv_u32_0_0_1v
	.type	_Z54ncclDevFunc_AllReduce_RING_SIMPLE_SumPostDiv_u32_0_0_1v,@function
_Z54ncclDevFunc_AllReduce_RING_SIMPLE_SumPostDiv_u32_0_0_1v: ; @_Z54ncclDevFunc_AllReduce_RING_SIMPLE_SumPostDiv_u32_0_0_1v
; %bb.0:
	s_waitcnt vmcnt(0) expcnt(0) lgkmcnt(0)
	s_mov_b32 s4, s33
	s_mov_b32 s33, s32
	s_or_saveexec_b64 s[6:7], -1
	buffer_store_dword v43, off, s[0:3], s33 offset:16 ; 4-byte Folded Spill
	buffer_store_dword v44, off, s[0:3], s33 offset:20 ; 4-byte Folded Spill
	s_mov_b64 exec, s[6:7]
	v_writelane_b32 v44, s4, 0
	s_addk_i32 s32, 0x800
	buffer_store_dword v40, off, s[0:3], s33 offset:12 ; 4-byte Folded Spill
	buffer_store_dword v41, off, s[0:3], s33 offset:8 ; 4-byte Folded Spill
	;; [unrolled: 1-line block ×3, first 2 shown]
	buffer_store_dword v63, off, s[0:3], s33 ; 4-byte Folded Spill
	v_writelane_b32 v43, s34, 0
	v_writelane_b32 v43, s35, 1
	;; [unrolled: 1-line block ×64, first 2 shown]
	s_trap 2
	ds_read_b32 v0, v0
	v_mov_b32_e32 v40, v31
	v_and_b32_e32 v41, 0x3ff, v40
	s_mov_b32 s90, s12
	s_mov_b64 s[88:89], s[8:9]
	s_waitcnt lgkmcnt(0)
	v_cmp_lt_i32_e32 vcc, v41, v0
	s_and_saveexec_b64 s[4:5], vcc
	s_cbranch_execz .LBB3_5
; %bb.1:
	s_load_dword s6, s[88:89], 0x0
	v_mov_b32_e32 v1, 0
	v_mov_b32_e32 v4, v41
                                        ; implicit-def: $vgpr2
	s_waitcnt lgkmcnt(0)
	s_cmp_lt_u32 s90, s6
	s_cselect_b32 s6, 12, 18
	s_add_u32 s6, s88, s6
	s_addc_u32 s7, s89, 0
	global_load_ushort v1, v1, s[6:7]
	s_trap 2
	ds_read_b32 v3, v0
	s_mov_b64 s[6:7], 0
	s_waitcnt vmcnt(0) lgkmcnt(0)
	v_mul_lo_u32 v3, v3, v1
	s_branch .LBB3_3
.LBB3_2:                                ;   in Loop: Header=BB3_3 Depth=1
	s_or_b64 exec, exec, s[8:9]
	v_add_u32_e32 v4, v4, v1
	v_cmp_ge_i32_e32 vcc, v4, v0
	s_or_b64 s[6:7], vcc, s[6:7]
	v_add_u32_e32 v2, v2, v3
	s_andn2_b64 exec, exec, s[6:7]
	s_cbranch_execz .LBB3_5
.LBB3_3:                                ; =>This Inner Loop Header: Depth=1
	ds_read_b32 v5, v2
	s_waitcnt lgkmcnt(0)
	v_and_b32_e32 v5, 0x1000000, v5
	v_cmp_ne_u32_e32 vcc, 0, v5
	s_and_saveexec_b64 s[8:9], vcc
	s_cbranch_execz .LBB3_2
; %bb.4:                                ;   in Loop: Header=BB3_3 Depth=1
	ds_read_b64 v[6:7], v2 offset:104
	s_waitcnt lgkmcnt(0)
	flat_load_dwordx2 v[6:7], v[6:7]
	s_waitcnt vmcnt(0) lgkmcnt(0)
	ds_write_b64 v2, v[6:7] offset:104
	s_branch .LBB3_2
.LBB3_5:
	s_or_b64 exec, exec, s[4:5]
	s_waitcnt lgkmcnt(0)
	s_barrier
	s_trap 2
	ds_read_b32 v0, v0
	s_waitcnt lgkmcnt(0)
	v_cmp_gt_i32_e32 vcc, 1, v0
	s_cbranch_vccnz .LBB3_13
; %bb.6:
	s_mov_b32 s91, 0
	s_mov_b64 s[92:93], src_shared_base
	v_mov_b32_e32 v42, 6
	s_branch .LBB3_8
.LBB3_7:                                ;   in Loop: Header=BB3_8 Depth=1
	s_or_b64 exec, exec, s[94:95]
	s_trap 2
	ds_read_b32 v0, v0
	s_add_i32 s91, s91, 1
	s_waitcnt lgkmcnt(0)
	v_cmp_lt_i32_e32 vcc, s91, v0
	s_cbranch_vccz .LBB3_13
.LBB3_8:                                ; =>This Inner Loop Header: Depth=1
	s_trap 2
	ds_read_b32 v0, v0
	s_cmp_eq_u32 s91, 0
	s_cbranch_scc1 .LBB3_11
; %bb.9:                                ;   in Loop: Header=BB3_8 Depth=1
	s_trap 2
	s_waitcnt lgkmcnt(0)
	ds_read_b32 v1, v0
	s_waitcnt lgkmcnt(0)
	v_xor_b32_e32 v1, v1, v0
	v_and_b32_e32 v1, 0xff0000, v1
	v_cmp_eq_u32_e32 vcc, 0, v1
	s_cbranch_vccnz .LBB3_11
; %bb.10:                               ;   in Loop: Header=BB3_8 Depth=1
	s_barrier
	ds_read_b32 v0, v0
.LBB3_11:                               ;   in Loop: Header=BB3_8 Depth=1
	s_waitcnt lgkmcnt(0)
	v_lshlrev_b32_sdwa v1, v42, v0 dst_sel:DWORD dst_unused:UNUSED_PAD src0_sel:DWORD src1_sel:BYTE_2
	v_cmp_lt_u32_e32 vcc, v41, v1
	s_and_saveexec_b64 s[94:95], vcc
	s_cbranch_execz .LBB3_7
; %bb.12:                               ;   in Loop: Header=BB3_8 Depth=1
	s_mov_b64 s[8:9], s[88:89]
	s_mov_b32 s12, s90
	v_mov_b32_e32 v31, v40
	v_mov_b32_e32 v0, v41
	;; [unrolled: 1-line block ×3, first 2 shown]
	s_getpc_b64 s[4:5]
	s_add_u32 s4, s4, _ZN12_GLOBAL__N_17runRingIj14FuncSumPostDivIjE11ProtoSimpleILi2ELi2ELi0ELi1ELi0ELi0EELi0ELi0ELi1ELi0EEEviiP15ncclDevWorkColl@rel32@lo+4
	s_addc_u32 s5, s5, _ZN12_GLOBAL__N_17runRingIj14FuncSumPostDivIjE11ProtoSimpleILi2ELi2ELi0ELi1ELi0ELi0EELi0ELi0ELi1ELi0EEEviiP15ncclDevWorkColl@rel32@hi+12
	s_swappc_b64 s[30:31], s[4:5]
	s_branch .LBB3_7
.LBB3_13:
	buffer_load_dword v63, off, s[0:3], s33 ; 4-byte Folded Reload
	buffer_load_dword v42, off, s[0:3], s33 offset:4 ; 4-byte Folded Reload
	buffer_load_dword v41, off, s[0:3], s33 offset:8 ; 4-byte Folded Reload
	;; [unrolled: 1-line block ×3, first 2 shown]
	v_readlane_b32 s30, v43, 62
	v_readlane_b32 s31, v43, 63
	;; [unrolled: 1-line block ×65, first 2 shown]
	s_or_saveexec_b64 s[6:7], -1
	buffer_load_dword v43, off, s[0:3], s33 offset:16 ; 4-byte Folded Reload
	buffer_load_dword v44, off, s[0:3], s33 offset:20 ; 4-byte Folded Reload
	s_mov_b64 exec, s[6:7]
	s_addk_i32 s32, 0xf800
	s_mov_b32 s33, s4
	s_waitcnt vmcnt(0)
	s_setpc_b64 s[30:31]
.Lfunc_end3:
	.size	_Z54ncclDevFunc_AllReduce_RING_SIMPLE_SumPostDiv_u32_0_0_1v, .Lfunc_end3-_Z54ncclDevFunc_AllReduce_RING_SIMPLE_SumPostDiv_u32_0_0_1v
                                        ; -- End function
	.section	.AMDGPU.csdata,"",@progbits
; Function info:
; codeLenInByte = 1632
; NumSgprs: 100
; NumVgprs: 64
; NumAgprs: 42
; TotalNumVgprs: 106
; ScratchSize: 208
; MemoryBound: 0
	.text
	.p2align	2                               ; -- Begin function _ZN12_GLOBAL__N_17runRingIj14FuncSumPostDivIjE11ProtoSimpleILi2ELi2ELi0ELi2ELi0ELi0EELi0ELi0ELi2ELi0EEEviiP15ncclDevWorkColl
	.type	_ZN12_GLOBAL__N_17runRingIj14FuncSumPostDivIjE11ProtoSimpleILi2ELi2ELi0ELi2ELi0ELi0EELi0ELi0ELi2ELi0EEEviiP15ncclDevWorkColl,@function
_ZN12_GLOBAL__N_17runRingIj14FuncSumPostDivIjE11ProtoSimpleILi2ELi2ELi0ELi2ELi0ELi0EELi0ELi0ELi2ELi0EEEviiP15ncclDevWorkColl: ; @_ZN12_GLOBAL__N_17runRingIj14FuncSumPostDivIjE11ProtoSimpleILi2ELi2ELi0ELi2ELi0ELi0EELi0ELi0ELi2ELi0EEEviiP15ncclDevWorkColl
; %bb.0:
	s_waitcnt vmcnt(0) expcnt(0) lgkmcnt(0)
	s_mov_b32 s4, s33
	s_mov_b32 s33, s32
	s_or_saveexec_b64 s[6:7], -1
	buffer_store_dword v63, off, s[0:3], s33 offset:92 ; 4-byte Folded Spill
	s_mov_b64 exec, s[6:7]
	v_writelane_b32 v63, s4, 56
	s_addk_i32 s32, 0x1c00
	buffer_store_dword v40, off, s[0:3], s33 offset:88 ; 4-byte Folded Spill
	buffer_store_dword v41, off, s[0:3], s33 offset:84 ; 4-byte Folded Spill
	;; [unrolled: 1-line block ×22, first 2 shown]
	buffer_store_dword a39, off, s[0:3], s33 ; 4-byte Folded Spill
	v_writelane_b32 v63, s34, 0
	v_writelane_b32 v63, s35, 1
	;; [unrolled: 1-line block ×56, first 2 shown]
	v_mov_b32_e32 v18, v1
	s_trap 2
	flat_load_dword v1, v[2:3]
	ds_read_b32 v4, v0
	v_mov_b32_e32 v60, v0
                                        ; implicit-def: $vgpr14_vgpr15
                                        ; implicit-def: $agpr4_agpr5
                                        ; implicit-def: $agpr6_agpr7
	s_waitcnt lgkmcnt(0)
	v_readfirstlane_b32 s72, v4
	s_waitcnt vmcnt(0)
	v_cmp_ne_u32_sdwa s[4:5], v1, v4 src0_sel:BYTE_0 src1_sel:DWORD
	s_and_saveexec_b64 s[6:7], s[4:5]
	s_xor_b64 s[4:5], exec, s[6:7]
	s_cbranch_execz .LBB4_6
; %bb.1:
	v_not_b32_sdwa v0, v1 dst_sel:DWORD dst_unused:UNUSED_PAD src0_sel:BYTE_0
	v_cmp_ne_u32_sdwa s[6:7], v1, v4 src0_sel:BYTE_1 src1_sel:DWORD
                                        ; implicit-def: $vgpr14_vgpr15
                                        ; implicit-def: $agpr4_agpr5
                                        ; implicit-def: $agpr6_agpr7
	s_and_saveexec_b64 s[10:11], s[6:7]
	s_xor_b64 s[6:7], exec, s[10:11]
	s_cbranch_execz .LBB4_3
; %bb.2:
	flat_load_dwordx4 v[6:9], v[2:3] offset:72
	flat_load_dwordx2 v[10:11], v[2:3] offset:96
	v_add_u32_e32 v0, v4, v0
	v_ashrrev_i32_e32 v1, 31, v0
	s_waitcnt vmcnt(0) lgkmcnt(0)
	v_mul_lo_u32 v1, v8, v1
	v_mad_u64_u32 v[4:5], s[10:11], v8, v0, v[6:7]
	v_mul_lo_u32 v0, v9, v0
	v_add3_u32 v5, v0, v5, v1
	v_accvgpr_write_b32 a4, v4
	v_accvgpr_write_b32 a6, v8
	v_lshrrev_b64 v[14:15], 14, v[10:11]
	v_accvgpr_write_b32 a5, v5
	v_accvgpr_write_b32 a7, v9
                                        ; implicit-def: $vgpr1
                                        ; implicit-def: $vgpr0
.LBB4_3:
	s_andn2_saveexec_b64 s[6:7], s[6:7]
	s_cbranch_execz .LBB4_5
; %bb.4:
	flat_load_dwordx4 v[4:7], v[2:3] offset:72
	flat_load_dwordx4 v[8:11], v[2:3] offset:88
	v_add_u32_sdwa v0, v1, v0 dst_sel:DWORD dst_unused:UNUSED_PAD src0_sel:BYTE_1 src1_sel:DWORD
	v_ashrrev_i32_e32 v1, 31, v0
	s_waitcnt vmcnt(0) lgkmcnt(0)
	v_mul_lo_u32 v1, v6, v1
	v_mad_u64_u32 v[4:5], s[10:11], v6, v0, v[4:5]
	v_mul_lo_u32 v0, v7, v0
	v_add3_u32 v5, v0, v5, v1
	v_accvgpr_write_b32 a4, v4
	v_accvgpr_write_b32 a6, v8
	;; [unrolled: 1-line block ×4, first 2 shown]
	v_lshrrev_b32_e32 v14, 3, v11
.LBB4_5:
	s_or_b64 exec, exec, s[6:7]
.LBB4_6:
	s_andn2_saveexec_b64 s[4:5], s[4:5]
	s_cbranch_execz .LBB4_8
; %bb.7:
	flat_load_dwordx2 v[0:1], v[2:3] offset:96
	flat_load_dwordx2 a[6:7], v[2:3] offset:72
	s_waitcnt vmcnt(0) lgkmcnt(0)
	v_lshlrev_b64 v[14:15], 7, v[0:1]
	v_pk_mov_b32 v[0:1], 0, 0
	v_accvgpr_write_b32 a5, v1
	v_accvgpr_write_b32 a4, v0
.LBB4_8:
	s_or_b64 exec, exec, s[4:5]
	s_trap 2
	ds_read_b64 v[0:1], v0
	s_waitcnt lgkmcnt(0)
	v_cmp_ne_u32_e32 vcc, -1, v0
	v_cndmask_b32_e64 v15, 0, 1, vcc
	v_cmp_ne_u32_e32 vcc, -1, v1
	v_addc_co_u32_e64 v1, s[4:5], 0, v15, vcc
	v_lshlrev_b32_e32 v0, 1, v1
	v_cmp_le_i32_e64 s[4:5], v0, v18
	s_and_saveexec_b64 s[6:7], s[4:5]
	s_xor_b64 s[46:47], exec, s[6:7]
	s_cbranch_execz .LBB4_1262
; %bb.9:
	flat_load_dwordx2 v[16:17], v[2:3] offset:104
	flat_load_dwordx4 v[10:13], v[2:3] offset:16
	flat_load_ushort v7, v[2:3] offset:8
	flat_load_dword v6, v[2:3] offset:4
	s_trap 2
	s_load_dword s4, s[8:9], 0x0
	v_mov_b32_e32 v0, 0
	v_mov_b32_e32 v62, 4
	s_waitcnt lgkmcnt(0)
	s_cmp_lt_u32 s12, s4
	s_cselect_b32 s4, 12, 18
	s_add_u32 s4, s8, s4
	s_addc_u32 s5, s9, 0
	global_load_ushort v19, v0, s[4:5]
	ds_read_b32 v0, v0
	v_cmp_ge_i32_e64 s[4:5], v60, v15
	s_waitcnt lgkmcnt(0)
	v_readfirstlane_b32 s18, v0
	s_and_saveexec_b64 s[6:7], s[4:5]
	s_cbranch_execz .LBB4_19
; %bb.10:
	v_cmp_le_u32_e64 s[4:5], v1, v60
                                        ; implicit-def: $vgpr62
	s_and_saveexec_b64 s[10:11], s[4:5]
	s_xor_b64 s[4:5], exec, s[10:11]
	s_cbranch_execz .LBB4_16
; %bb.11:
	v_cndmask_b32_e64 v0, 0, 1, vcc
	v_sub_u32_e32 v0, v18, v0
	v_cmp_ge_u32_e32 vcc, v60, v0
                                        ; implicit-def: $sgpr12
	s_and_saveexec_b64 s[10:11], vcc
	s_xor_b64 s[10:11], exec, s[10:11]
; %bb.12:
	s_mov_b32 s12, 16
                                        ; implicit-def: $vgpr1
; %bb.13:
	s_or_saveexec_b64 s[10:11], s[10:11]
	v_mov_b32_e32 v62, s12
	s_xor_b64 exec, exec, s[10:11]
; %bb.14:
	v_sub_u32_e32 v0, v18, v1
	v_cmp_ge_i32_e32 vcc, v60, v0
	v_cndmask_b32_e64 v0, 0, 1, vcc
	v_lshlrev_b32_e32 v62, 5, v0
; %bb.15:
	s_or_b64 exec, exec, s[10:11]
.LBB4_16:
	s_andn2_saveexec_b64 s[4:5], s[4:5]
; %bb.17:
	v_mov_b32_e32 v62, 8
; %bb.18:
	s_or_b64 exec, exec, s[4:5]
.LBB4_19:
	s_or_b64 exec, exec, s[6:7]
	v_and_b32_e32 v0, 36, v62
	v_cmp_ne_u32_e32 vcc, 0, v0
	v_mov_b32_e32 v4, -1
	s_and_saveexec_b64 s[4:5], vcc
	s_cbranch_execz .LBB4_21
; %bb.20:
	s_trap 2
	ds_read_b32 v4, v0
.LBB4_21:
	s_or_b64 exec, exec, s[4:5]
	v_and_b32_e32 v0, 24, v62
	v_cmp_ne_u32_e64 s[4:5], 0, v0
	s_and_saveexec_b64 s[6:7], s[4:5]
	s_cbranch_execz .LBB4_23
; %bb.22:
	s_trap 2
	s_waitcnt lgkmcnt(0)
	ds_read_b32 v4, v0
.LBB4_23:
	s_or_b64 exec, exec, s[6:7]
	s_waitcnt vmcnt(0)
	v_lshrrev_b64 v[0:1], 31, v[6:7]
	v_pk_mov_b32 v[20:21], 0, 0
	v_and_b32_e32 v1, 3, v0
	v_pk_mov_b32 v[44:45], v[20:21], v[20:21] op_sel:[0,1]
                                        ; implicit-def: $agpr8_agpr9
                                        ; implicit-def: $vgpr30
                                        ; implicit-def: $vgpr32_vgpr33
                                        ; implicit-def: $vgpr40_vgpr41
                                        ; implicit-def: $vgpr50_vgpr51
                                        ; implicit-def: $vgpr34_vgpr35
	s_and_saveexec_b64 s[4:5], vcc
	s_cbranch_execz .LBB4_33
; %bb.24:
	s_trap 2
	ds_read_b64 v[6:7], v0
	s_waitcnt lgkmcnt(1)
	v_ashrrev_i32_e32 v5, 31, v4
	v_lshlrev_b64 v[8:9], 3, v[4:5]
	v_and_b32_e32 v0, 0xffff, v1
	s_movk_i32 s6, 0xa8
	s_waitcnt lgkmcnt(0)
	v_add_co_u32_e32 v6, vcc, v6, v8
	v_addc_co_u32_e32 v7, vcc, v7, v9, vcc
	flat_load_dwordx2 v[6:7], v[6:7]
                                        ; implicit-def: $agpr8_agpr9
	s_waitcnt vmcnt(0) lgkmcnt(0)
	v_mad_u64_u32 v[6:7], s[6:7], v0, s6, v[6:7]
	flat_load_dword v0, v[6:7] offset:640
	v_add_co_u32_e32 v20, vcc, 0x1f8, v6
	v_addc_co_u32_e32 v21, vcc, 0, v7, vcc
	s_waitcnt vmcnt(0) lgkmcnt(0)
	v_cmp_eq_u32_e32 vcc, 1, v0
	s_and_saveexec_b64 s[6:7], vcc
	s_cbranch_execz .LBB4_26
; %bb.25:
	flat_load_dwordx2 v[8:9], v[20:21] offset:144
	v_or_b32_e32 v62, 0x2000, v62
	s_waitcnt vmcnt(0) lgkmcnt(0)
	flat_load_dwordx2 v[6:7], v[8:9]
	s_trap 2
	v_accvgpr_write_b32 a8, v8
	v_accvgpr_write_b32 a9, v9
	s_waitcnt vmcnt(0) lgkmcnt(0)
	ds_write_b64 v0, v[6:7]
	flat_load_dwordx2 v[6:7], v[8:9] offset:8
	s_waitcnt vmcnt(0) lgkmcnt(0)
	ds_write_b64 v0, v[6:7]
	flat_load_dwordx2 v[6:7], v[8:9] offset:16
	s_waitcnt vmcnt(0) lgkmcnt(0)
	ds_write_b64 v0, v[6:7]
.LBB4_26:
	s_or_b64 exec, exec, s[6:7]
	flat_load_dwordx2 v[6:7], v[20:21] offset:104
	v_and_b32_e32 v0, 32, v62
                                        ; implicit-def: $vgpr34_vgpr35
	s_waitcnt vmcnt(0) lgkmcnt(0)
	v_add_co_u32_e32 v5, vcc, 3, v6
	v_addc_co_u32_e32 v33, vcc, 0, v7, vcc
	v_and_b32_e32 v32, -4, v5
	v_cmp_ne_u32_e32 vcc, 0, v0
	s_and_saveexec_b64 s[6:7], vcc
	s_cbranch_execz .LBB4_28
; %bb.27:
	flat_load_dwordx2 v[34:35], v[20:21] offset:56
	s_waitcnt vmcnt(0) lgkmcnt(0)
	flat_store_dwordx2 v[34:35], v[32:33]
.LBB4_28:
	s_or_b64 exec, exec, s[6:7]
	v_and_b32_e32 v0, 4, v62
	v_cmp_ne_u32_e32 vcc, 0, v0
	v_pk_mov_b32 v[44:45], 0, 0
                                        ; implicit-def: $vgpr30
                                        ; implicit-def: $vgpr40_vgpr41
                                        ; implicit-def: $vgpr50_vgpr51
	s_and_saveexec_b64 s[6:7], vcc
	s_cbranch_execz .LBB4_32
; %bb.29:
	v_and_b32_e32 v0, 0x800, v62
	v_cmp_eq_u32_e32 vcc, 0, v0
	s_and_saveexec_b64 s[10:11], vcc
	s_cbranch_execz .LBB4_31
; %bb.30:
	s_trap 2
	ds_write_b64 v0, v[20:21]
.LBB4_31:
	s_or_b64 exec, exec, s[10:11]
	flat_load_dwordx2 v[34:35], v[20:21] offset:48
	v_or_b32_e32 v5, 0x100, v62
	s_waitcnt vmcnt(0) lgkmcnt(0)
	flat_load_dwordx2 v[50:51], v[34:35] glc
	flat_load_dword v0, v[20:21] offset:72
	flat_load_dwordx2 v[44:45], v[20:21] offset:96
	flat_load_dwordx2 v[40:41], v[20:21] offset:16
	s_waitcnt vmcnt(0) lgkmcnt(0)
	v_ashrrev_i32_e32 v30, 2, v0
	v_cmp_eq_u64_e32 vcc, 0, v[44:45]
	v_cndmask_b32_e32 v62, v5, v62, vcc
.LBB4_32:
	s_or_b64 exec, exec, s[6:7]
.LBB4_33:
	s_or_b64 exec, exec, s[4:5]
	v_and_b32_e32 v0, 24, v62
	v_cmp_ne_u32_e32 vcc, 0, v0
                                        ; implicit-def: $vgpr38_vgpr39
	s_and_saveexec_b64 s[4:5], vcc
	s_cbranch_execz .LBB4_41
; %bb.34:
	s_trap 2
	ds_read_b64 v[6:7], v0
	s_waitcnt lgkmcnt(0)
	v_ashrrev_i32_e32 v5, 31, v4
	v_lshlrev_b64 v[4:5], 3, v[4:5]
	v_and_b32_e32 v0, 0xffff, v1
	s_movk_i32 s6, 0xa8
	v_add_co_u32_e32 v4, vcc, v6, v4
	v_addc_co_u32_e32 v5, vcc, v7, v5, vcc
	flat_load_dwordx2 v[4:5], v[4:5]
                                        ; implicit-def: $vgpr38_vgpr39
	s_waitcnt vmcnt(0) lgkmcnt(0)
	v_mad_u64_u32 v[20:21], s[6:7], v0, s6, v[4:5]
	flat_load_dwordx4 v[44:47], v[20:21] offset:96
	v_or_b32_e32 v0, 0x100, v62
	s_waitcnt vmcnt(0) lgkmcnt(0)
	v_cmp_eq_u64_e32 vcc, 0, v[44:45]
	v_cndmask_b32_e32 v62, v0, v62, vcc
	v_and_b32_e32 v0, 16, v62
	v_cmp_ne_u32_e32 vcc, 0, v0
	s_and_saveexec_b64 s[6:7], vcc
	s_cbranch_execz .LBB4_36
; %bb.35:
	flat_load_dwordx2 v[38:39], v[20:21] offset:120
	flat_load_dwordx2 v[34:35], v[20:21] offset:48
	;; [unrolled: 1-line block ×3, first 2 shown]
.LBB4_36:
	s_or_b64 exec, exec, s[6:7]
	v_add_co_u32_e32 v0, vcc, 3, v46
	v_addc_co_u32_e32 v33, vcc, 0, v47, vcc
	v_and_b32_e32 v32, -4, v0
	v_and_b32_e32 v0, 8, v62
	v_cmp_ne_u32_e32 vcc, 0, v0
	s_and_saveexec_b64 s[6:7], vcc
	s_cbranch_execz .LBB4_40
; %bb.37:
	v_and_b32_e32 v0, 0x800, v62
	v_cmp_eq_u32_e32 vcc, 0, v0
	s_and_saveexec_b64 s[10:11], vcc
	s_cbranch_execz .LBB4_39
; %bb.38:
	s_trap 2
	ds_write_b64 v0, v[20:21]
.LBB4_39:
	s_or_b64 exec, exec, s[10:11]
	s_waitcnt vmcnt(0) lgkmcnt(0)
	flat_load_dwordx2 v[34:35], v[20:21] offset:56
	s_waitcnt vmcnt(0) lgkmcnt(0)
	flat_load_dwordx2 v[50:51], v[34:35] glc
	flat_load_dword v0, v[20:21] offset:72
	flat_load_dwordx2 v[40:41], v[20:21] offset:16
	s_waitcnt vmcnt(0) lgkmcnt(0)
	v_ashrrev_i32_e32 v30, 2, v0
.LBB4_40:
	s_or_b64 exec, exec, s[6:7]
.LBB4_41:
	s_or_b64 exec, exec, s[4:5]
	v_cmp_eq_u32_e64 s[4:5], 0, v60
	s_and_saveexec_b64 s[6:7], s[4:5]
	s_cbranch_execz .LBB4_43
; %bb.42:
	flat_load_dwordx2 v[0:1], v[2:3] offset:32
	s_waitcnt lgkmcnt(0)
	v_mov_b32_e32 v4, v12
	v_mov_b32_e32 v5, v13
	;; [unrolled: 1-line block ×4, first 2 shown]
	s_waitcnt vmcnt(0)
	ds_write2_b64 v0, v[4:5], v[6:7] offset1:1
	s_trap 2
	ds_write_b64 v0, v[0:1]
	ds_write_b64 v0, v[16:17]
.LBB4_43:
	s_or_b64 exec, exec, s[6:7]
	v_accvgpr_read_b32 v0, a6
	v_accvgpr_read_b32 v1, a7
	s_mov_b64 s[50:51], 0
	v_cmp_lt_i64_e32 vcc, 0, v[0:1]
	v_pk_mov_b32 v[48:49], 0, 0
	s_and_saveexec_b64 s[48:49], vcc
	s_cbranch_execz .LBB4_1226
; %bb.44:
	flat_load_dword v2, v[2:3] offset:4
	s_ashr_i32 s19, s18, 31
	s_lshr_b32 s19, s19, 29
	s_add_i32 s24, s18, s19
	s_ashr_i32 s73, s72, 31
	s_ashr_i32 s25, s24, 5
	v_and_b32_e32 v8, 0xfffff80, v14
	s_add_u32 s74, s72, -1
	v_cmp_ge_i32_e32 vcc, v60, v18
	v_and_b32_e32 v0, 63, v31
	v_cmp_eq_u32_e64 s[6:7], 64, v18
	v_cmp_ne_u32_e64 s[10:11], 64, v18
	v_accvgpr_write_b32 a2, v19
	v_cmp_ne_u32_sdwa s[52:53], v19, v18 src0_sel:WORD_0 src1_sel:DWORD
	v_accvgpr_write_b32 a0, v18
	v_lshrrev_b32_e32 v36, 6, v18
	v_ashrrev_i32_e32 v1, 31, v60
	v_mov_b32_e32 v3, 0xfffff800
	v_mad_i64_i32 v[18:19], s[16:17], v8, s72, 0
	s_addc_u32 s75, s73, -1
	s_add_i32 s76, s72, s72
	s_not_b32 s26, s72
	s_movk_i32 s20, 0x800
	v_cmp_eq_u32_e64 s[16:17], 0, v0
	v_lshrrev_b32_e32 v0, 26, v1
	v_lshl_add_u32 v1, v36, 11, v3
	s_cmp_gt_i32 s72, 0
	s_waitcnt lgkmcnt(0)
	v_mov_b32_e32 v4, 0xfffffe00
	v_ashrrev_i32_e32 v5, 31, v1
	v_add_co_u32_e64 v58, s[18:19], s20, v1
	s_cselect_b32 s26, s26, -1
	s_ashr_i32 s24, s24, 31
	s_movk_i32 s23, 0x200
	v_lshl_add_u32 v3, v36, 9, v4
	v_addc_co_u32_e64 v59, s[18:19], 0, v5, s[18:19]
	s_lshr_b32 s24, s24, 28
	v_mov_b32_e32 v6, 0
	v_lshlrev_b32_e32 v61, 10, v36
	v_ashrrev_i32_e32 v7, 31, v3
	v_add_co_u32_e64 v26, s[18:19], s23, v3
	s_add_i32 s77, s26, s76
	s_add_i32 s25, s25, s24
	s_movk_i32 s21, 0x400
	v_mov_b32_e32 v9, v6
	v_add_u32_e32 v4, v60, v0
	v_add_u32_e32 v54, 0xfffffc00, v61
	v_addc_co_u32_e64 v27, s[18:19], 0, v7, s[18:19]
	s_ashr_i32 s78, s77, 31
	s_ashr_i32 s79, s25, 4
	v_accvgpr_write_b32 a1, v31
	v_accvgpr_write_b32 a31, v9
	v_lshlrev_b32_e32 v37, 8, v36
	v_ashrrev_i32_e32 v0, 6, v4
	v_and_b32_e32 v4, 0xffffffc0, v4
	v_ashrrev_i32_e32 v53, 31, v54
	v_add_co_u32_e64 v31, s[18:19], s21, v54
	s_cmp_gt_i32 s72, 2
	s_movk_i32 s22, 0x100
	v_accvgpr_write_b32 a30, v8
	v_add_u32_e32 v8, 0xffffff00, v37
	v_sub_u32_e32 v57, v60, v4
	v_lshlrev_b32_e32 v3, 11, v0
	v_addc_co_u32_e64 v1, s[18:19], 0, v53, s[18:19]
	s_cselect_b64 s[54:55], -1, 0
	s_add_i32 s26, s72, 1
	v_ashrrev_i32_e32 v5, 31, v8
	v_add_co_u32_e64 v42, s[18:19], s22, v8
	v_lshl_add_u32 v4, v57, 4, v3
	v_accvgpr_write_b32 a23, v5
	v_addc_co_u32_e64 v43, s[18:19], 0, v5, s[18:19]
	v_ashrrev_i32_e32 v5, 31, v4
	s_waitcnt vmcnt(0)
	v_and_b32_e32 v2, 1, v2
	v_cmp_eq_u32_e64 s[24:25], 1, v2
	s_xor_b64 s[56:57], s[24:25], -1
	s_cmp_le_i32 s72, s26
	s_cselect_b32 s27, s72, 0
	v_accvgpr_write_b32 a10, v20
	v_accvgpr_write_b32 a27, v5
	s_sub_i32 s80, s26, s27
	v_pk_mov_b32 v[22:23], 0, 0
	v_accvgpr_read_b32 v2, a6
	v_accvgpr_write_b32 a12, v44
	v_accvgpr_write_b32 a14, v40
	;; [unrolled: 1-line block ×5, first 2 shown]
	v_ashrrev_i32_e32 v47, 31, v30
	v_cmp_eq_u64_e64 s[12:13], 0, v[38:39]
	v_cmp_ne_u64_e64 s[14:15], 0, v[38:39]
	v_cmp_gt_i32_e64 s[18:19], 1, v57
	v_cmp_lt_i32_e64 s[20:21], v57, v15
	v_cmp_le_i32_e64 s[22:23], v57, v15
	v_accvgpr_write_b32 a26, v4
	s_ashr_i32 s81, s80, 31
	s_add_i32 s82, s72, -2
	s_xor_b64 s[58:59], vcc, -1
	s_movk_i32 s83, 0x270e
	v_mov_b32_e32 v46, 1
	s_movk_i32 s84, 0x108
	v_pk_mov_b32 v[48:49], v[22:23], v[22:23] op_sel:[0,1]
	v_accvgpr_read_b32 v3, a7
	v_accvgpr_write_b32 a13, v45
	v_accvgpr_write_b32 a15, v41
	;; [unrolled: 1-line block ×8, first 2 shown]
	s_trap 2
	s_branch .LBB4_47
.LBB4_45:                               ;   in Loop: Header=BB4_47 Depth=1
	s_or_b64 exec, exec, s[30:31]
.LBB4_46:                               ;   in Loop: Header=BB4_47 Depth=1
	s_or_b64 exec, exec, s[28:29]
	v_add_co_u32_e32 v22, vcc, v22, v18
	v_accvgpr_read_b32 v2, a6
	v_addc_co_u32_e32 v23, vcc, v23, v19, vcc
	v_accvgpr_read_b32 v3, a7
	v_cmp_ge_i64_e32 vcc, v[22:23], v[2:3]
	s_or_b64 s[50:51], vcc, s[50:51]
	s_andn2_b64 exec, exec, s[50:51]
	s_cbranch_execz .LBB4_1225
.LBB4_47:                               ; =>This Loop Header: Depth=1
                                        ;     Child Loop BB4_57 Depth 2
                                        ;       Child Loop BB4_65 Depth 3
                                        ;       Child Loop BB4_89 Depth 3
	;; [unrolled: 1-line block ×9, first 2 shown]
                                        ;     Child Loop BB4_199 Depth 2
                                        ;       Child Loop BB4_205 Depth 3
                                        ;       Child Loop BB4_234 Depth 3
	;; [unrolled: 1-line block ×3, first 2 shown]
                                        ;     Child Loop BB4_271 Depth 2
                                        ;       Child Loop BB4_274 Depth 3
                                        ;         Child Loop BB4_282 Depth 4
                                        ;         Child Loop BB4_310 Depth 4
	;; [unrolled: 1-line block ×9, first 2 shown]
                                        ;       Child Loop BB4_420 Depth 3
                                        ;         Child Loop BB4_426 Depth 4
                                        ;         Child Loop BB4_466 Depth 4
	;; [unrolled: 1-line block ×3, first 2 shown]
                                        ;     Child Loop BB4_496 Depth 2
                                        ;       Child Loop BB4_504 Depth 3
                                        ;       Child Loop BB4_532 Depth 3
	;; [unrolled: 1-line block ×9, first 2 shown]
                                        ;         Child Loop BB4_578 Depth 4
                                        ;       Child Loop BB4_595 Depth 3
                                        ;       Child Loop BB4_600 Depth 3
                                        ;         Child Loop BB4_601 Depth 4
                                        ;       Child Loop BB4_644 Depth 3
                                        ;       Child Loop BB4_663 Depth 3
                                        ;     Child Loop BB4_681 Depth 2
                                        ;       Child Loop BB4_687 Depth 3
                                        ;       Child Loop BB4_719 Depth 3
                                        ;       Child Loop BB4_738 Depth 3
                                        ;     Child Loop BB4_757 Depth 2
                                        ;       Child Loop BB4_760 Depth 3
                                        ;         Child Loop BB4_768 Depth 4
                                        ;         Child Loop BB4_796 Depth 4
	;; [unrolled: 1-line block ×9, first 2 shown]
                                        ;           Child Loop BB4_856 Depth 5
                                        ;         Child Loop BB4_865 Depth 4
                                        ;         Child Loop BB4_870 Depth 4
                                        ;           Child Loop BB4_871 Depth 5
                                        ;         Child Loop BB4_843 Depth 4
                                        ;         Child Loop BB4_922 Depth 4
                                        ;       Child Loop BB4_940 Depth 3
                                        ;         Child Loop BB4_946 Depth 4
                                        ;         Child Loop BB4_978 Depth 4
                                        ;         Child Loop BB4_997 Depth 4
                                        ;     Child Loop BB4_1019 Depth 2
                                        ;       Child Loop BB4_1027 Depth 3
                                        ;       Child Loop BB4_1051 Depth 3
	;; [unrolled: 1-line block ×9, first 2 shown]
                                        ;     Child Loop BB4_1159 Depth 2
                                        ;       Child Loop BB4_1165 Depth 3
                                        ;       Child Loop BB4_1189 Depth 3
	;; [unrolled: 1-line block ×3, first 2 shown]
	v_sub_co_u32_e32 v2, vcc, v2, v22
	v_subb_co_u32_e32 v3, vcc, v3, v23, vcc
	v_accvgpr_write_b32 a33, v3
	v_accvgpr_write_b32 a32, v2
	v_cmp_lt_i64_e32 vcc, v[2:3], v[18:19]
	s_and_saveexec_b64 s[28:29], vcc
	s_cbranch_execz .LBB4_53
; %bb.48:                               ;   in Loop: Header=BB4_47 Depth=1
	v_accvgpr_read_b32 v4, a32
	v_mov_b32_e32 v2, s75
	v_accvgpr_read_b32 v5, a33
	v_add_co_u32_e32 v4, vcc, s74, v4
	v_addc_co_u32_e32 v5, vcc, v2, v5, vcc
	v_or_b32_e32 v7, s73, v5
	v_cmp_ne_u64_e32 vcc, 0, v[6:7]
                                        ; implicit-def: $vgpr2_vgpr3
	s_and_saveexec_b64 s[26:27], vcc
	s_xor_b64 s[30:31], exec, s[26:27]
	s_cbranch_execz .LBB4_50
; %bb.49:                               ;   in Loop: Header=BB4_47 Depth=1
	s_add_u32 s26, s72, s73
	s_mov_b32 s34, s73
	s_mov_b32 s35, s73
	s_addc_u32 s27, s73, s73
	s_xor_b64 s[36:37], s[26:27], s[34:35]
	v_cvt_f32_u32_e32 v2, s36
	v_cvt_f32_u32_e32 v3, s37
	s_sub_u32 s26, 0, s36
	s_subb_u32 s27, 0, s37
	v_mac_f32_e32 v2, 0x4f800000, v3
	v_rcp_f32_e32 v2, v2
	v_mul_f32_e32 v2, 0x5f7ffffc, v2
	v_mul_f32_e32 v3, 0x2f800000, v2
	v_trunc_f32_e32 v3, v3
	v_mac_f32_e32 v2, 0xcf800000, v3
	v_cvt_u32_f32_e32 v3, v3
	v_cvt_u32_f32_e32 v2, v2
	v_mul_lo_u32 v7, s26, v3
	v_mul_hi_u32 v9, s26, v2
	v_mul_lo_u32 v8, s27, v2
	v_add_u32_e32 v7, v9, v7
	v_mul_lo_u32 v10, s26, v2
	v_add_u32_e32 v7, v7, v8
	v_mul_lo_u32 v9, v2, v7
	v_mul_hi_u32 v11, v2, v10
	v_mul_hi_u32 v8, v2, v7
	v_add_co_u32_e32 v9, vcc, v11, v9
	v_addc_co_u32_e32 v8, vcc, 0, v8, vcc
	v_mul_hi_u32 v12, v3, v10
	v_mul_lo_u32 v10, v3, v10
	v_add_co_u32_e32 v9, vcc, v9, v10
	v_mul_hi_u32 v11, v3, v7
	v_addc_co_u32_e32 v8, vcc, v8, v12, vcc
	v_addc_co_u32_e32 v9, vcc, 0, v11, vcc
	v_mul_lo_u32 v7, v3, v7
	v_add_co_u32_e32 v7, vcc, v8, v7
	v_addc_co_u32_e32 v8, vcc, 0, v9, vcc
	v_add_co_u32_e32 v2, vcc, v2, v7
	v_addc_co_u32_e32 v3, vcc, v3, v8, vcc
	v_mul_lo_u32 v7, s26, v3
	v_mul_hi_u32 v8, s26, v2
	v_add_u32_e32 v7, v8, v7
	v_mul_lo_u32 v8, s27, v2
	v_add_u32_e32 v7, v7, v8
	v_mul_lo_u32 v9, s26, v2
	v_mul_hi_u32 v10, v3, v9
	v_mul_lo_u32 v11, v3, v9
	v_mul_lo_u32 v13, v2, v7
	v_mul_hi_u32 v9, v2, v9
	v_mul_hi_u32 v12, v2, v7
	v_add_co_u32_e32 v9, vcc, v9, v13
	v_addc_co_u32_e32 v12, vcc, 0, v12, vcc
	v_add_co_u32_e32 v9, vcc, v9, v11
	v_mul_hi_u32 v8, v3, v7
	v_addc_co_u32_e32 v9, vcc, v12, v10, vcc
	v_addc_co_u32_e32 v8, vcc, 0, v8, vcc
	v_mul_lo_u32 v7, v3, v7
	v_add_co_u32_e32 v7, vcc, v9, v7
	v_addc_co_u32_e32 v8, vcc, 0, v8, vcc
	v_add_co_u32_e32 v7, vcc, v2, v7
	v_addc_co_u32_e32 v8, vcc, v3, v8, vcc
	v_ashrrev_i32_e32 v9, 31, v5
	v_add_co_u32_e32 v2, vcc, v4, v9
	v_addc_co_u32_e32 v3, vcc, v5, v9, vcc
	v_xor_b32_e32 v11, v2, v9
	v_xor_b32_e32 v10, v3, v9
	v_mad_u64_u32 v[2:3], s[26:27], v11, v8, 0
	v_mul_hi_u32 v4, v11, v7
	v_add_co_u32_e32 v12, vcc, v4, v2
	v_addc_co_u32_e32 v13, vcc, 0, v3, vcc
	v_mad_u64_u32 v[4:5], s[26:27], v10, v7, 0
	v_add_co_u32_e32 v4, vcc, v12, v4
	v_mad_u64_u32 v[2:3], s[26:27], v10, v8, 0
	v_addc_co_u32_e32 v4, vcc, v13, v5, vcc
	v_addc_co_u32_e32 v3, vcc, 0, v3, vcc
	v_add_co_u32_e32 v4, vcc, v4, v2
	v_addc_co_u32_e32 v5, vcc, 0, v3, vcc
	v_mul_lo_u32 v7, s37, v4
	v_mul_lo_u32 v8, s36, v5
	v_mad_u64_u32 v[2:3], s[26:27], s36, v4, 0
	v_add3_u32 v3, v3, v8, v7
	v_sub_u32_e32 v7, v10, v3
	v_mov_b32_e32 v8, s37
	v_sub_co_u32_e32 v2, vcc, v11, v2
	v_subb_co_u32_e64 v7, s[26:27], v7, v8, vcc
	v_subrev_co_u32_e64 v8, s[26:27], s36, v2
	v_subbrev_co_u32_e64 v7, s[26:27], 0, v7, s[26:27]
	v_cmp_le_u32_e64 s[26:27], s37, v7
	v_cndmask_b32_e64 v11, 0, -1, s[26:27]
	v_cmp_le_u32_e64 s[26:27], s36, v8
	v_cndmask_b32_e64 v8, 0, -1, s[26:27]
	v_cmp_eq_u32_e64 s[26:27], s37, v7
	v_cndmask_b32_e64 v7, v11, v8, s[26:27]
	v_add_co_u32_e64 v8, s[26:27], 2, v4
	v_subb_co_u32_e32 v3, vcc, v10, v3, vcc
	v_addc_co_u32_e64 v11, s[26:27], 0, v5, s[26:27]
	v_cmp_le_u32_e32 vcc, s37, v3
	v_add_co_u32_e64 v12, s[26:27], 1, v4
	v_cndmask_b32_e64 v10, 0, -1, vcc
	v_cmp_le_u32_e32 vcc, s36, v2
	v_addc_co_u32_e64 v13, s[26:27], 0, v5, s[26:27]
	v_cndmask_b32_e64 v2, 0, -1, vcc
	v_cmp_eq_u32_e32 vcc, s37, v3
	v_cmp_ne_u32_e64 s[26:27], 0, v7
	v_cndmask_b32_e32 v2, v10, v2, vcc
	v_cndmask_b32_e64 v7, v13, v11, s[26:27]
	v_cmp_ne_u32_e32 vcc, 0, v2
	v_cndmask_b32_e64 v3, v12, v8, s[26:27]
	v_cndmask_b32_e32 v2, v5, v7, vcc
	v_cndmask_b32_e32 v3, v4, v3, vcc
	v_xor_b32_e32 v4, s35, v9
	v_xor_b32_e32 v5, s34, v9
	;; [unrolled: 1-line block ×4, first 2 shown]
	v_sub_co_u32_e32 v2, vcc, v2, v5
	v_subb_co_u32_e32 v3, vcc, v7, v4, vcc
                                        ; implicit-def: $vgpr4
.LBB4_50:                               ;   in Loop: Header=BB4_47 Depth=1
	s_andn2_saveexec_b64 s[26:27], s[30:31]
	s_cbranch_execz .LBB4_52
; %bb.51:                               ;   in Loop: Header=BB4_47 Depth=1
	v_cvt_f32_u32_e32 v2, s72
	s_sub_i32 vcc_lo, 0, s72
	v_rcp_iflag_f32_e32 v2, v2
	v_mul_f32_e32 v2, 0x4f7ffffe, v2
	v_cvt_u32_f32_e32 v2, v2
	v_mul_lo_u32 v3, vcc_lo, v2
	v_mul_hi_u32 v3, v2, v3
	v_add_u32_e32 v2, v2, v3
	v_mul_hi_u32 v2, v4, v2
	v_mul_lo_u32 v3, v2, s72
	v_sub_u32_e32 v3, v4, v3
	v_add_u32_e32 v5, 1, v2
	v_subrev_u32_e32 v4, s72, v3
	v_cmp_le_u32_e32 vcc, s72, v3
	v_cndmask_b32_e32 v3, v3, v4, vcc
	v_cndmask_b32_e32 v2, v2, v5, vcc
	v_add_u32_e32 v4, 1, v2
	v_cmp_le_u32_e32 vcc, s72, v3
	v_cndmask_b32_e32 v2, v2, v4, vcc
	v_mov_b32_e32 v3, v6
.LBB4_52:                               ;   in Loop: Header=BB4_47 Depth=1
	s_or_b64 exec, exec, s[26:27]
	v_add_co_u32_e32 v2, vcc, 3, v2
	v_addc_co_u32_e32 v3, vcc, 0, v3, vcc
	v_and_b32_e32 v2, -4, v2
	v_accvgpr_write_b32 a31, v3
	v_accvgpr_write_b32 a30, v2
.LBB4_53:                               ;   in Loop: Header=BB4_47 Depth=1
	s_or_b64 exec, exec, s[28:29]
	v_accvgpr_read_b32 v8, a30
	v_accvgpr_read_b32 v9, a31
	v_mul_lo_u32 v2, v9, s77
	v_mul_lo_u32 v3, v8, s78
	v_mad_u64_u32 v[4:5], s[26:27], v8, s77, 0
	v_add3_u32 v5, v5, v3, v2
	v_accvgpr_read_b32 v2, a4
	v_accvgpr_read_b32 v3, a5
	v_add_co_u32_e32 v2, vcc, v22, v2
	v_addc_co_u32_e32 v3, vcc, v23, v3, vcc
	v_accvgpr_write_b32 a35, v3
	v_accvgpr_write_b32 a34, v2
	v_accvgpr_read_b32 v2, a32
	v_accvgpr_read_b32 v3, a33
	v_sub_co_u32_e32 v2, vcc, v2, v4
	v_subb_co_u32_e32 v3, vcc, v3, v5, vcc
	v_cmp_lt_i64_e32 vcc, v[8:9], v[2:3]
	v_cndmask_b32_e32 v3, v2, v8, vcc
	v_max_i32_e32 v16, 0, v3
	v_add_u32_e32 v2, 31, v16
	v_lshrrev_b32_e32 v2, 1, v2
	v_and_b32_e32 v2, 0x3ffffff0, v2
	v_max_i32_e32 v2, s79, v2
	v_cmp_lt_i32_e32 vcc, 0, v3
	v_mov_b32_e32 v3, 0
	v_mov_b32_e32 v8, 0
	s_and_b64 s[26:27], s[58:59], vcc
	s_mov_b64 s[28:29], exec
	v_accvgpr_write_b32 a29, v23
	s_and_b64 s[26:27], s[28:29], s[26:27]
	v_accvgpr_write_b32 a28, v22
	s_mov_b64 exec, s[26:27]
	s_cbranch_execz .LBB4_195
; %bb.54:                               ;   in Loop: Header=BB4_47 Depth=1
	s_mov_b32 s66, 1
	s_mov_b64 s[34:35], -1
	s_mov_b64 s[30:31], 0
	v_mov_b32_e32 v8, 0
	v_lshlrev_b64 v[10:11], 2, v[4:5]
	s_branch .LBB4_57
.LBB4_55:                               ;   in Loop: Header=BB4_57 Depth=2
	s_or_b64 exec, exec, vcc
	v_add_co_u32_e32 v32, vcc, 2, v32
	v_addc_co_u32_e32 v33, vcc, 0, v33, vcc
	flat_store_dwordx2 v[34:35], v[32:33]
.LBB4_56:                               ;   in Loop: Header=BB4_57 Depth=2
	s_or_b64 exec, exec, s[26:27]
	v_add_u32_e32 v8, v2, v8
	v_cmp_ge_i32_e32 vcc, v8, v16
	s_xor_b64 s[26:27], s[34:35], -1
	s_or_b64 s[26:27], s[26:27], vcc
	s_and_b64 s[26:27], exec, s[26:27]
	s_or_b64 s[30:31], s[26:27], s[30:31]
	s_mov_b64 s[34:35], 0
	v_mov_b32_e32 v3, s66
	s_mov_b32 s66, 2
	s_andn2_b64 exec, exec, s[30:31]
	s_cbranch_execz .LBB4_194
.LBB4_57:                               ;   Parent Loop BB4_47 Depth=1
                                        ; =>  This Loop Header: Depth=2
                                        ;       Child Loop BB4_65 Depth 3
                                        ;       Child Loop BB4_89 Depth 3
	;; [unrolled: 1-line block ×9, first 2 shown]
	s_and_saveexec_b64 s[26:27], s[4:5]
	s_cbranch_execz .LBB4_59
; %bb.58:                               ;   in Loop: Header=BB4_57 Depth=2
	s_trap 2
	ds_read_b64 v[4:5], v0
	v_accvgpr_read_b32 v12, a34
	v_accvgpr_read_b32 v13, a35
	v_lshlrev_b64 v[12:13], 2, v[12:13]
	v_ashrrev_i32_e32 v9, 31, v8
	s_waitcnt lgkmcnt(0)
	v_add_co_u32_e32 v3, vcc, v4, v12
	v_addc_co_u32_e32 v4, vcc, v5, v13, vcc
	v_add_co_u32_e32 v3, vcc, v3, v10
	v_addc_co_u32_e32 v7, vcc, v4, v11, vcc
	v_lshlrev_b64 v[4:5], 2, v[8:9]
	v_add_co_u32_e32 v4, vcc, v3, v4
	v_addc_co_u32_e32 v5, vcc, v7, v5, vcc
	v_mov_b32_e32 v7, v6
	ds_write_b64 v0, v[4:5]
	ds_write_b64 v0, v[6:7]
.LBB4_59:                               ;   in Loop: Header=BB4_57 Depth=2
	s_or_b64 exec, exec, s[26:27]
	v_and_b32_e32 v3, 8, v62
	v_cmp_ne_u32_e32 vcc, 0, v3
	s_mov_b64 s[36:37], -1
	s_and_saveexec_b64 s[26:27], vcc
	s_cbranch_execz .LBB4_71
; %bb.60:                               ;   in Loop: Header=BB4_57 Depth=2
	v_add_co_u32_e32 v12, vcc, 8, v50
	v_addc_co_u32_e32 v13, vcc, 0, v51, vcc
	v_add_co_u32_e32 v4, vcc, 2, v32
	v_addc_co_u32_e32 v5, vcc, 0, v33, vcc
	v_cmp_lt_u64_e32 vcc, v[12:13], v[4:5]
	v_mov_b32_e32 v3, 1
	s_and_saveexec_b64 s[36:37], vcc
	s_cbranch_execz .LBB4_70
; %bb.61:                               ;   in Loop: Header=BB4_57 Depth=2
	s_mov_b64 s[38:39], 0
	v_mov_b32_e32 v3, 0
                                        ; implicit-def: $sgpr40_sgpr41
	s_branch .LBB4_65
.LBB4_62:                               ;   in Loop: Header=BB4_65 Depth=3
	s_or_b64 exec, exec, s[62:63]
	v_mov_b32_e32 v9, 0
	s_orn2_b64 s[60:61], s[60:61], exec
.LBB4_63:                               ;   in Loop: Header=BB4_65 Depth=3
	s_or_b64 exec, exec, s[44:45]
	s_andn2_b64 vcc, s[40:41], exec
	s_and_b64 s[40:41], s[60:61], exec
	s_or_b64 s[40:41], vcc, s[40:41]
	v_mov_b32_e32 v3, v9
.LBB4_64:                               ;   in Loop: Header=BB4_65 Depth=3
	s_or_b64 exec, exec, s[42:43]
	s_waitcnt vmcnt(0) lgkmcnt(0)
	v_add_co_u32_e32 v12, vcc, 8, v50
	v_addc_co_u32_e32 v13, vcc, 0, v51, vcc
	v_cmp_ge_u64_e32 vcc, v[12:13], v[4:5]
	s_xor_b64 s[42:43], s[40:41], -1
	s_or_b64 vcc, s[42:43], vcc
	s_and_b64 vcc, exec, vcc
	s_or_b64 s[38:39], vcc, s[38:39]
	s_andn2_b64 exec, exec, s[38:39]
	s_cbranch_execz .LBB4_69
.LBB4_65:                               ;   Parent Loop BB4_47 Depth=1
                                        ;     Parent Loop BB4_57 Depth=2
                                        ; =>    This Inner Loop Header: Depth=3
	s_sleep 1
	flat_load_dwordx2 v[50:51], v[34:35] glc
	v_and_b32_e32 v7, 64, v62
	v_cmp_eq_u32_e32 vcc, 0, v7
	s_andn2_b64 s[40:41], s[40:41], exec
	s_and_saveexec_b64 s[42:43], vcc
	s_cbranch_execz .LBB4_64
; %bb.66:                               ;   in Loop: Header=BB4_65 Depth=3
	v_add_u32_e32 v9, 1, v3
	v_cmp_lt_i32_e32 vcc, s83, v3
	s_mov_b64 s[60:61], -1
	s_and_saveexec_b64 s[44:45], vcc
	s_cbranch_execz .LBB4_63
; %bb.67:                               ;   in Loop: Header=BB4_65 Depth=3
	s_trap 2
	ds_read_b64 v[12:13], v0
	s_waitcnt vmcnt(0) lgkmcnt(0)
	flat_load_dword v3, v[12:13] glc
	s_waitcnt vmcnt(0) lgkmcnt(0)
	buffer_invl2
	buffer_wbinvl1_vol
	v_cmp_ne_u32_e32 vcc, 0, v3
	s_and_saveexec_b64 s[62:63], vcc
	s_cbranch_execz .LBB4_62
; %bb.68:                               ;   in Loop: Header=BB4_65 Depth=3
	v_or_b32_e32 v62, 64, v62
	s_xor_b64 s[60:61], exec, -1
	ds_write_b32 v0, v3
	s_trap 2
	s_branch .LBB4_62
.LBB4_69:                               ;   in Loop: Header=BB4_57 Depth=2
	s_or_b64 exec, exec, s[38:39]
	v_and_b32_e32 v3, 8, v62
.LBB4_70:                               ;   in Loop: Header=BB4_57 Depth=2
	s_or_b64 exec, exec, s[36:37]
	v_cmp_eq_u32_e32 vcc, 0, v3
	s_orn2_b64 s[36:37], vcc, exec
	;;#ASMSTART
	s_wakeup
	;;#ASMEND
.LBB4_71:                               ;   in Loop: Header=BB4_57 Depth=2
	s_or_b64 exec, exec, s[26:27]
	v_sub_u32_e32 v3, v16, v8
	s_xor_b64 s[26:27], s[36:37], -1
	v_min_i32_e32 v2, v2, v3
	s_and_saveexec_b64 s[36:37], s[26:27]
	s_cbranch_execz .LBB4_81
; %bb.72:                               ;   in Loop: Header=BB4_57 Depth=2
	v_and_b32_e32 v3, 0x100, v62
	v_cmp_ne_u32_e32 vcc, 0, v3
	v_and_b32_e32 v9, 7, v32
	s_mov_b64 s[26:27], -1
                                        ; implicit-def: $vgpr4_vgpr5
	s_and_saveexec_b64 s[38:39], vcc
	s_cbranch_execz .LBB4_76
; %bb.73:                               ;   in Loop: Header=BB4_57 Depth=2
	v_mad_u64_u32 v[12:13], s[26:27], v9, 24, v[44:45]
	flat_load_dword v7, v[12:13]
	v_ashrrev_i32_e32 v3, 31, v2
	v_lshlrev_b64 v[4:5], 2, v[2:3]
	flat_store_dwordx2 v[12:13], v[4:5] offset:8
                                        ; implicit-def: $vgpr4_vgpr5
	s_waitcnt vmcnt(0) lgkmcnt(0)
	v_cmp_ne_u32_e32 vcc, 1, v7
	v_cmp_eq_u32_e64 s[26:27], 1, v7
	s_and_saveexec_b64 s[40:41], s[26:27]
	s_cbranch_execz .LBB4_75
; %bb.74:                               ;   in Loop: Header=BB4_57 Depth=2
	flat_load_dword v4, v[12:13] offset:4 glc
	s_waitcnt vmcnt(0) lgkmcnt(0)
	v_ashrrev_i32_e32 v5, 31, v4
	v_lshrrev_b64 v[4:5], 2, v[4:5]
.LBB4_75:                               ;   in Loop: Header=BB4_57 Depth=2
	s_or_b64 exec, exec, s[40:41]
	s_orn2_b64 s[26:27], vcc, exec
.LBB4_76:                               ;   in Loop: Header=BB4_57 Depth=2
	s_or_b64 exec, exec, s[38:39]
	s_and_saveexec_b64 vcc, s[26:27]
; %bb.77:                               ;   in Loop: Header=BB4_57 Depth=2
	v_mad_i64_i32 v[4:5], s[26:27], v9, v30, 0
; %bb.78:                               ;   in Loop: Header=BB4_57 Depth=2
	s_or_b64 exec, exec, vcc
	v_lshlrev_b64 v[4:5], 2, v[4:5]
	v_add_co_u32_e32 v4, vcc, v40, v4
	v_addc_co_u32_e32 v5, vcc, v41, v5, vcc
	v_and_b32_e32 v3, 0x2000, v62
	v_cmp_ne_u32_e32 vcc, 0, v3
	ds_write_b64 v0, v[4:5] offset:784
	s_and_saveexec_b64 s[26:27], vcc
	s_cbranch_execz .LBB4_80
; %bb.79:                               ;   in Loop: Header=BB4_57 Depth=2
	ds_read_b64 v[4:5], v0 offset:584
	s_waitcnt lgkmcnt(0)
	v_add_co_u32_e32 v4, vcc, 1, v4
	v_addc_co_u32_e32 v5, vcc, 0, v5, vcc
	ds_write_b64 v0, v[4:5] offset:584
.LBB4_80:                               ;   in Loop: Header=BB4_57 Depth=2
	s_or_b64 exec, exec, s[26:27]
	v_add_co_u32_e32 v32, vcc, 2, v32
	v_addc_co_u32_e32 v33, vcc, 0, v33, vcc
.LBB4_81:                               ;   in Loop: Header=BB4_57 Depth=2
	s_or_b64 exec, exec, s[36:37]
	s_and_saveexec_b64 s[26:27], s[10:11]
	s_cbranch_execz .LBB4_100
; %bb.82:                               ;   in Loop: Header=BB4_57 Depth=2
	s_and_saveexec_b64 vcc, s[52:53]
	s_xor_b64 s[36:37], exec, vcc
	s_cbranch_execz .LBB4_97
; %bb.83:                               ;   in Loop: Header=BB4_57 Depth=2
	s_and_saveexec_b64 s[38:39], s[16:17]
	s_cbranch_execz .LBB4_96
; %bb.84:                               ;   in Loop: Header=BB4_57 Depth=2
	s_mov_b64 s[42:43], exec
	v_mbcnt_lo_u32_b32 v3, s42, 0
	v_mbcnt_hi_u32_b32 v3, s43, v3
	v_cmp_eq_u32_e32 vcc, 0, v3
	s_waitcnt vmcnt(0) lgkmcnt(0)
	buffer_wbinvl1_vol
	s_and_saveexec_b64 s[40:41], vcc
	s_cbranch_execz .LBB4_86
; %bb.85:                               ;   in Loop: Header=BB4_57 Depth=2
	s_bcnt1_i32_b64 vcc_lo, s[42:43]
	v_mov_b32_e32 v4, vcc_lo
	v_mov_b32_e32 v5, v6
	ds_add_u64 v0, v[4:5]
	s_trap 2
.LBB4_86:                               ;   in Loop: Header=BB4_57 Depth=2
	s_or_b64 exec, exec, s[40:41]
	s_trap 2
	ds_read_b64 v[4:5], v0
	v_add_co_u32_e32 v48, vcc, v48, v36
	v_addc_co_u32_e32 v49, vcc, 0, v49, vcc
	s_waitcnt lgkmcnt(0)
	v_cmp_lt_u64_e32 vcc, v[4:5], v[48:49]
	s_and_saveexec_b64 s[40:41], vcc
	s_cbranch_execz .LBB4_95
; %bb.87:                               ;   in Loop: Header=BB4_57 Depth=2
	s_mov_b32 s67, 0
	s_mov_b64 s[42:43], 0
                                        ; implicit-def: $sgpr44_sgpr45
                                        ; implicit-def: $sgpr60_sgpr61
	s_branch .LBB4_89
.LBB4_88:                               ;   in Loop: Header=BB4_89 Depth=3
	s_or_b64 exec, exec, s[64:65]
	s_and_b64 vcc, exec, vcc
	s_or_b64 s[42:43], vcc, s[42:43]
	s_andn2_b64 vcc, s[44:45], exec
	s_and_b64 s[44:45], s[60:61], exec
	s_or_b64 s[44:45], vcc, s[44:45]
	s_andn2_b64 exec, exec, s[42:43]
	s_cbranch_execz .LBB4_93
.LBB4_89:                               ;   Parent Loop BB4_47 Depth=1
                                        ;     Parent Loop BB4_57 Depth=2
                                        ; =>    This Inner Loop Header: Depth=3
	s_add_i32 s67, s67, 1
	s_cmpk_lg_i32 s67, 0x2710
	s_cselect_b64 s[62:63], -1, 0
	s_and_b64 vcc, exec, s[62:63]
                                        ; implicit-def: $sgpr64_sgpr65
	s_cbranch_vccnz .LBB4_91
; %bb.90:                               ;   in Loop: Header=BB4_89 Depth=3
	s_trap 2
	ds_read_b64 v[4:5], v0
	s_andn2_b64 s[62:63], s[62:63], exec
	s_mov_b32 s67, 0
	s_mov_b64 s[64:65], -1
	s_waitcnt lgkmcnt(0)
	flat_load_dword v3, v[4:5] glc
	s_waitcnt vmcnt(0) lgkmcnt(0)
	buffer_invl2
	buffer_wbinvl1_vol
	v_cmp_eq_u32_e32 vcc, 0, v3
	s_and_b64 vcc, vcc, exec
	s_or_b64 s[62:63], s[62:63], vcc
.LBB4_91:                               ;   in Loop: Header=BB4_89 Depth=3
	s_andn2_b64 s[60:61], s[60:61], exec
	s_and_b64 s[64:65], s[64:65], exec
	s_mov_b64 vcc, -1
	s_or_b64 s[60:61], s[60:61], s[64:65]
	s_and_saveexec_b64 s[64:65], s[62:63]
	s_cbranch_execz .LBB4_88
; %bb.92:                               ;   in Loop: Header=BB4_89 Depth=3
	s_sleep 1
	s_trap 2
	ds_read_b64 v[4:5], v0
	s_andn2_b64 s[60:61], s[60:61], exec
	s_waitcnt lgkmcnt(0)
	v_cmp_ge_u64_e32 vcc, v[4:5], v[48:49]
	s_orn2_b64 vcc, vcc, exec
	s_branch .LBB4_88
.LBB4_93:                               ;   in Loop: Header=BB4_57 Depth=2
	s_or_b64 exec, exec, s[42:43]
	s_and_saveexec_b64 vcc, s[44:45]
	s_xor_b64 vcc, exec, vcc
	s_cbranch_execz .LBB4_95
; %bb.94:                               ;   in Loop: Header=BB4_57 Depth=2
	ds_write_b32 v0, v46
	s_trap 2
.LBB4_95:                               ;   in Loop: Header=BB4_57 Depth=2
	s_or_b64 exec, exec, s[40:41]
	;;#ASMSTART
	s_wakeup
	;;#ASMEND
.LBB4_96:                               ;   in Loop: Header=BB4_57 Depth=2
	s_or_b64 exec, exec, s[38:39]
.LBB4_97:                               ;   in Loop: Header=BB4_57 Depth=2
	s_andn2_saveexec_b64 vcc, s[36:37]
	s_cbranch_execz .LBB4_99
; %bb.98:                               ;   in Loop: Header=BB4_57 Depth=2
	s_waitcnt vmcnt(0) lgkmcnt(0)
	buffer_wbinvl1_vol
	s_barrier
.LBB4_99:                               ;   in Loop: Header=BB4_57 Depth=2
	s_or_b64 exec, exec, vcc
.LBB4_100:                              ;   in Loop: Header=BB4_57 Depth=2
	s_or_b64 exec, exec, s[26:27]
	s_trap 2
	ds_read_b32 v3, v0
	v_and_b32_e32 v4, 0x4000, v62
	v_cmp_ne_u32_e32 vcc, 0, v4
	s_xor_b64 s[26:27], s[6:7], -1
	s_and_b64 vcc, s[26:27], vcc
	s_and_saveexec_b64 s[26:27], vcc
	s_cbranch_execz .LBB4_119
; %bb.101:                              ;   in Loop: Header=BB4_57 Depth=2
	s_and_saveexec_b64 vcc, s[52:53]
	s_xor_b64 s[36:37], exec, vcc
	s_cbranch_execz .LBB4_116
; %bb.102:                              ;   in Loop: Header=BB4_57 Depth=2
	s_and_saveexec_b64 s[38:39], s[16:17]
	s_cbranch_execz .LBB4_115
; %bb.103:                              ;   in Loop: Header=BB4_57 Depth=2
	s_mov_b64 s[42:43], exec
	v_mbcnt_lo_u32_b32 v4, s42, 0
	v_mbcnt_hi_u32_b32 v4, s43, v4
	v_cmp_eq_u32_e32 vcc, 0, v4
	s_waitcnt vmcnt(0) lgkmcnt(0)
	buffer_wbinvl1_vol
	s_and_saveexec_b64 s[40:41], vcc
	s_cbranch_execz .LBB4_105
; %bb.104:                              ;   in Loop: Header=BB4_57 Depth=2
	s_bcnt1_i32_b64 vcc_lo, s[42:43]
	v_mov_b32_e32 v4, vcc_lo
	v_mov_b32_e32 v5, v6
	ds_add_u64 v0, v[4:5]
	s_trap 2
.LBB4_105:                              ;   in Loop: Header=BB4_57 Depth=2
	s_or_b64 exec, exec, s[40:41]
	s_trap 2
	ds_read_b64 v[4:5], v0
	v_add_co_u32_e32 v48, vcc, v48, v36
	v_addc_co_u32_e32 v49, vcc, 0, v49, vcc
	s_waitcnt lgkmcnt(0)
	v_cmp_lt_u64_e32 vcc, v[4:5], v[48:49]
	s_and_saveexec_b64 s[40:41], vcc
	s_cbranch_execz .LBB4_114
; %bb.106:                              ;   in Loop: Header=BB4_57 Depth=2
	s_mov_b32 s67, 0
	s_mov_b64 s[42:43], 0
                                        ; implicit-def: $sgpr44_sgpr45
                                        ; implicit-def: $sgpr60_sgpr61
	s_branch .LBB4_108
.LBB4_107:                              ;   in Loop: Header=BB4_108 Depth=3
	s_or_b64 exec, exec, s[64:65]
	s_and_b64 vcc, exec, vcc
	s_or_b64 s[42:43], vcc, s[42:43]
	s_andn2_b64 vcc, s[44:45], exec
	s_and_b64 s[44:45], s[60:61], exec
	s_or_b64 s[44:45], vcc, s[44:45]
	s_andn2_b64 exec, exec, s[42:43]
	s_cbranch_execz .LBB4_112
.LBB4_108:                              ;   Parent Loop BB4_47 Depth=1
                                        ;     Parent Loop BB4_57 Depth=2
                                        ; =>    This Inner Loop Header: Depth=3
	s_add_i32 s67, s67, 1
	s_cmpk_lg_i32 s67, 0x2710
	s_cselect_b64 s[62:63], -1, 0
	s_and_b64 vcc, exec, s[62:63]
                                        ; implicit-def: $sgpr64_sgpr65
	s_cbranch_vccnz .LBB4_110
; %bb.109:                              ;   in Loop: Header=BB4_108 Depth=3
	s_trap 2
	ds_read_b64 v[4:5], v0
	s_andn2_b64 s[62:63], s[62:63], exec
	s_mov_b32 s67, 0
	s_mov_b64 s[64:65], -1
	s_waitcnt lgkmcnt(0)
	flat_load_dword v4, v[4:5] glc
	s_waitcnt vmcnt(0) lgkmcnt(0)
	buffer_invl2
	buffer_wbinvl1_vol
	v_cmp_eq_u32_e32 vcc, 0, v4
	s_and_b64 vcc, vcc, exec
	s_or_b64 s[62:63], s[62:63], vcc
.LBB4_110:                              ;   in Loop: Header=BB4_108 Depth=3
	s_andn2_b64 s[60:61], s[60:61], exec
	s_and_b64 s[64:65], s[64:65], exec
	s_mov_b64 vcc, -1
	s_or_b64 s[60:61], s[60:61], s[64:65]
	s_and_saveexec_b64 s[64:65], s[62:63]
	s_cbranch_execz .LBB4_107
; %bb.111:                              ;   in Loop: Header=BB4_108 Depth=3
	s_sleep 1
	s_trap 2
	ds_read_b64 v[4:5], v0
	s_andn2_b64 s[60:61], s[60:61], exec
	s_waitcnt lgkmcnt(0)
	v_cmp_ge_u64_e32 vcc, v[4:5], v[48:49]
	s_orn2_b64 vcc, vcc, exec
	s_branch .LBB4_107
.LBB4_112:                              ;   in Loop: Header=BB4_57 Depth=2
	s_or_b64 exec, exec, s[42:43]
	s_and_saveexec_b64 vcc, s[44:45]
	s_xor_b64 vcc, exec, vcc
	s_cbranch_execz .LBB4_114
; %bb.113:                              ;   in Loop: Header=BB4_57 Depth=2
	ds_write_b32 v0, v46
	s_trap 2
.LBB4_114:                              ;   in Loop: Header=BB4_57 Depth=2
	s_or_b64 exec, exec, s[40:41]
	;;#ASMSTART
	s_wakeup
	;;#ASMEND
.LBB4_115:                              ;   in Loop: Header=BB4_57 Depth=2
	s_or_b64 exec, exec, s[38:39]
.LBB4_116:                              ;   in Loop: Header=BB4_57 Depth=2
	s_andn2_saveexec_b64 vcc, s[36:37]
	s_cbranch_execz .LBB4_118
; %bb.117:                              ;   in Loop: Header=BB4_57 Depth=2
	s_waitcnt vmcnt(0) lgkmcnt(0)
	buffer_wbinvl1_vol
	s_barrier
.LBB4_118:                              ;   in Loop: Header=BB4_57 Depth=2
	s_or_b64 exec, exec, vcc
.LBB4_119:                              ;   in Loop: Header=BB4_57 Depth=2
	s_or_b64 exec, exec, s[26:27]
	s_trap 2
	ds_read_b64 v[4:5], v0
	v_mov_b32_e32 v9, 0
	s_waitcnt lgkmcnt(0)
	v_readfirstlane_b32 s26, v4
	v_readfirstlane_b32 s27, v5
	s_cmp_eq_u64 s[26:27], 0
	s_cselect_b64 s[26:27], -1, 0
	s_or_b64 s[26:27], s[26:27], s[26:27]
	s_and_b64 vcc, exec, s[26:27]
	s_cbranch_vccnz .LBB4_126
; %bb.120:                              ;   in Loop: Header=BB4_57 Depth=2
	s_mov_b64 s[26:27], -1
	s_and_saveexec_b64 s[36:37], s[18:19]
	s_cbranch_execz .LBB4_122
; %bb.121:                              ;   in Loop: Header=BB4_57 Depth=2
	ds_read_b32 v4, v0 offset:720
	s_waitcnt lgkmcnt(0)
	v_and_b32_e32 v4, 15, v4
	v_cmp_eq_u32_e32 vcc, 0, v4
	s_orn2_b64 s[26:27], vcc, exec
.LBB4_122:                              ;   in Loop: Header=BB4_57 Depth=2
	s_or_b64 exec, exec, s[36:37]
	s_and_saveexec_b64 s[36:37], s[20:21]
	s_cbranch_execz .LBB4_124
; %bb.123:                              ;   in Loop: Header=BB4_57 Depth=2
	ds_read_b32 v4, v0 offset:784
	s_waitcnt lgkmcnt(0)
	v_and_b32_e32 v4, 15, v4
	v_cmp_eq_u32_e32 vcc, 0, v4
	s_and_b64 vcc, s[26:27], vcc
	s_andn2_b64 s[26:27], s[26:27], exec
	s_and_b64 vcc, vcc, exec
	s_or_b64 s[26:27], s[26:27], vcc
.LBB4_124:                              ;   in Loop: Header=BB4_57 Depth=2
	s_or_b64 exec, exec, s[36:37]
	v_cmp_eq_u32_e32 vcc, 0, v3
	s_xor_b64 s[26:27], s[26:27], -1
	v_cndmask_b32_e32 v9, 0, v2, vcc
	v_cndmask_b32_e64 v3, 0, 1, s[26:27]
	v_mov_b32_e32 v13, 0
	v_lshlrev_b32_e32 v17, 2, v9
	s_mov_b64 s[38:39], -1
	;;#ASMSTART
	;;#ASMEND
	v_cmp_ne_u32_e32 vcc, 0, v3
	s_cbranch_vccz .LBB4_132
; %bb.125:                              ;   in Loop: Header=BB4_57 Depth=2
	v_mov_b32_e32 v18, v60
	v_mov_b32_e32 v3, v0
	s_and_saveexec_b64 s[26:27], s[38:39]
	s_cbranch_execnz .LBB4_145
	s_branch .LBB4_154
.LBB4_126:                              ;   in Loop: Header=BB4_57 Depth=2
	s_and_saveexec_b64 s[26:27], s[10:11]
	s_cbranch_execnz .LBB4_155
.LBB4_127:                              ;   in Loop: Header=BB4_57 Depth=2
	s_or_b64 exec, exec, s[26:27]
                                        ; implicit-def: $vgpr3
	s_and_saveexec_b64 s[26:27], s[24:25]
	s_xor_b64 s[36:37], exec, s[26:27]
	s_cbranch_execz .LBB4_173
.LBB4_128:                              ;   in Loop: Header=BB4_57 Depth=2
	v_and_b32_e32 v4, 16, v62
	v_cmp_lt_i32_e32 vcc, 0, v9
	v_cmp_ne_u32_e64 s[26:27], 0, v4
	v_and_b32_e32 v3, 16, v62
	s_and_b64 vcc, s[26:27], vcc
	s_and_saveexec_b64 s[26:27], vcc
	s_cbranch_execz .LBB4_130
; %bb.129:                              ;   in Loop: Header=BB4_57 Depth=2
	v_mov_b32_e32 v3, 1
	s_waitcnt vmcnt(0) lgkmcnt(0)
	buffer_wbinvl1_vol
.LBB4_130:                              ;   in Loop: Header=BB4_57 Depth=2
	s_or_b64 exec, exec, s[26:27]
	s_andn2_saveexec_b64 s[26:27], s[36:37]
	s_cbranch_execnz .LBB4_174
.LBB4_131:                              ;   in Loop: Header=BB4_57 Depth=2
	s_or_b64 exec, exec, s[26:27]
	v_cmp_ne_u32_e32 vcc, 0, v3
	s_and_saveexec_b64 s[26:27], vcc
	s_cbranch_execz .LBB4_56
	s_branch .LBB4_192
.LBB4_132:                              ;   in Loop: Header=BB4_57 Depth=2
	v_ashrrev_i32_e32 v3, 31, v17
	v_lshrrev_b32_e32 v3, 21, v3
	v_add_u32_e32 v3, v17, v3
	v_ashrrev_i32_e32 v3, 11, v3
	v_sub_u32_e32 v15, v3, v0
	v_cmp_lt_i32_e32 vcc, 0, v15
	s_and_saveexec_b64 s[26:27], vcc
	s_cbranch_execz .LBB4_136
; %bb.133:                              ;   in Loop: Header=BB4_57 Depth=2
	s_trap 2
	ds_read_b64 v[4:5], v0
	v_accvgpr_read_b32 v12, a26
	s_mov_b64 s[36:37], 0
	v_accvgpr_read_b32 v13, a27
.LBB4_134:                              ;   Parent Loop BB4_47 Depth=1
                                        ;     Parent Loop BB4_57 Depth=2
                                        ; =>    This Inner Loop Header: Depth=3
	s_waitcnt lgkmcnt(0)
	v_add_co_u32_e32 v28, vcc, v4, v12
	v_addc_co_u32_e32 v29, vcc, v5, v13, vcc
	global_load_dwordx4 v[18:21], v[28:29], off glc slc
	global_load_dwordx4 v[22:25], v[28:29], off offset:1024 glc slc
	v_add_co_u32_e32 v12, vcc, v12, v58
	v_sub_u32_e32 v15, v15, v36
	v_addc_co_u32_e32 v13, vcc, v13, v59, vcc
	v_cmp_gt_i32_e32 vcc, 1, v15
	s_or_b64 s[36:37], vcc, s[36:37]
	s_waitcnt vmcnt(0)
	global_store_dwordx4 v[28:29], v[18:21], off glc slc
	s_waitcnt vmcnt(1)
	global_store_dwordx4 v[28:29], v[22:25], off offset:1024 glc slc
	s_andn2_b64 exec, exec, s[36:37]
	s_cbranch_execnz .LBB4_134
; %bb.135:                              ;   in Loop: Header=BB4_57 Depth=2
	s_or_b64 exec, exec, s[36:37]
.LBB4_136:                              ;   in Loop: Header=BB4_57 Depth=2
	s_or_b64 exec, exec, s[26:27]
	v_lshlrev_b32_e32 v14, 11, v3
	v_cmp_ne_u32_e32 vcc, v17, v14
	s_mov_b64 s[38:39], 0
	v_mov_b32_e32 v13, 0
                                        ; implicit-def: $vgpr18
                                        ; implicit-def: $vgpr3
	s_and_saveexec_b64 s[36:37], vcc
	s_cbranch_execz .LBB4_144
; %bb.137:                              ;   in Loop: Header=BB4_57 Depth=2
	v_lshlrev_b32_e32 v3, 6, v15
	v_sub_u32_e32 v3, v57, v3
	v_ashrrev_i32_e32 v5, 31, v3
	v_lshrrev_b32_e32 v5, 26, v5
	v_add_u32_e32 v5, v3, v5
	v_sub_u32_e32 v4, v17, v14
	v_ashrrev_i32_e32 v7, 6, v5
	v_and_b32_e32 v5, 0xffffffc0, v5
	v_sub_u32_e32 v15, v3, v5
	v_ashrrev_i32_e32 v5, 31, v4
	v_lshrrev_b32_e32 v5, 22, v5
	v_add_u32_e32 v5, v4, v5
	v_and_b32_e32 v19, 0xfffffc00, v5
	v_lshlrev_b32_e32 v3, 4, v15
	v_sub_u32_e32 v21, v4, v19
	v_lshl_add_u32 v3, v7, 10, v3
	v_ashrrev_i32_e32 v12, 10, v5
	v_cmp_lt_i32_e32 vcc, 15, v21
	v_sub_u32_e32 v13, v4, v3
	v_addc_co_u32_e64 v4, s[26:27], 0, v12, vcc
	v_sub_u32_e32 v20, v4, v7
	v_cmp_lt_i32_e64 s[26:27], 15, v13
	s_and_saveexec_b64 s[38:39], s[26:27]
	s_cbranch_execz .LBB4_141
; %bb.138:                              ;   in Loop: Header=BB4_57 Depth=2
	s_trap 2
	ds_read_b64 v[4:5], v0
	v_add_u32_e32 v12, v3, v14
	v_ashrrev_i32_e32 v3, 31, v12
	s_mov_b64 s[40:41], 0
.LBB4_139:                              ;   Parent Loop BB4_47 Depth=1
                                        ;     Parent Loop BB4_57 Depth=2
                                        ; =>    This Inner Loop Header: Depth=3
	s_waitcnt lgkmcnt(0)
	v_add_co_u32_e64 v28, s[26:27], v4, v12
	v_addc_co_u32_e64 v29, s[26:27], v5, v3, s[26:27]
	global_load_dwordx4 v[22:25], v[28:29], off glc slc
	v_add_co_u32_e64 v12, s[26:27], v12, v31
	v_sub_u32_e32 v13, v13, v61
	v_addc_co_u32_e64 v3, s[26:27], v3, v1, s[26:27]
	v_cmp_gt_i32_e64 s[26:27], 16, v13
	v_sub_u32_e32 v20, v20, v36
	s_or_b64 s[40:41], s[26:27], s[40:41]
	s_waitcnt vmcnt(0)
	global_store_dwordx4 v[28:29], v[22:25], off glc slc
	s_andn2_b64 exec, exec, s[40:41]
	s_cbranch_execnz .LBB4_139
; %bb.140:                              ;   in Loop: Header=BB4_57 Depth=2
	s_or_b64 exec, exec, s[40:41]
.LBB4_141:                              ;   in Loop: Header=BB4_57 Depth=2
	s_or_b64 exec, exec, s[38:39]
	v_and_b32_e32 v4, 12, v17
	v_cndmask_b32_e32 v17, v21, v4, vcc
	v_cmp_ne_u32_e64 s[26:27], 0, v17
	s_mov_b64 s[38:39], 0
	v_mov_b32_e32 v13, 0
                                        ; implicit-def: $vgpr18
                                        ; implicit-def: $vgpr3
	s_and_saveexec_b64 s[40:41], s[26:27]
	s_cbranch_execz .LBB4_143
; %bb.142:                              ;   in Loop: Header=BB4_57 Depth=2
	v_sub_u32_e32 v3, v21, v4
	v_cndmask_b32_e32 v3, 0, v3, vcc
	v_cmp_lt_i32_e32 vcc, 0, v20
	v_add3_u32 v13, v19, v14, v3
	v_cndmask_b32_e32 v3, 0, v36, vcc
	v_sub_u32_e32 v3, v3, v20
	v_lshl_add_u32 v18, v3, 6, v15
	v_ashrrev_i32_e32 v3, 31, v18
	v_lshrrev_b32_e32 v3, 26, v3
	v_add_u32_e32 v3, v18, v3
	s_mov_b64 s[38:39], exec
	v_ashrrev_i32_e32 v3, 6, v3
.LBB4_143:                              ;   in Loop: Header=BB4_57 Depth=2
	s_or_b64 exec, exec, s[40:41]
	s_and_b64 s[38:39], s[38:39], exec
.LBB4_144:                              ;   in Loop: Header=BB4_57 Depth=2
	s_or_b64 exec, exec, s[36:37]
	s_and_saveexec_b64 s[26:27], s[38:39]
	s_cbranch_execz .LBB4_154
.LBB4_145:                              ;   in Loop: Header=BB4_57 Depth=2
	v_ashrrev_i32_e32 v4, 31, v17
	v_lshrrev_b32_e32 v4, 22, v4
	v_add_u32_e32 v4, v17, v4
	v_ashrrev_i32_e32 v21, 10, v4
	v_sub_u32_e32 v19, v21, v3
	v_ashrrev_i32_e32 v4, 31, v18
	v_cmp_lt_i32_e32 vcc, 0, v19
	v_lshrrev_b32_e32 v20, 26, v4
	s_and_saveexec_b64 s[36:37], vcc
	s_cbranch_execz .LBB4_149
; %bb.146:                              ;   in Loop: Header=BB4_57 Depth=2
	s_trap 2
	ds_read_b64 v[4:5], v0
	v_add_u32_e32 v7, v18, v20
	v_and_b32_e32 v7, 0x3fffffc0, v7
	v_sub_u32_e32 v7, v18, v7
	v_lshlrev_b32_e32 v7, 2, v7
	v_lshlrev_b32_e32 v3, 10, v3
	v_add3_u32 v12, v7, v13, v3
	v_ashrrev_i32_e32 v3, 31, v12
	s_mov_b64 s[38:39], 0
	s_waitcnt lgkmcnt(0)
	v_pk_mov_b32 v[14:15], v[4:5], v[4:5] op_sel:[0,1]
.LBB4_147:                              ;   Parent Loop BB4_47 Depth=1
                                        ;     Parent Loop BB4_57 Depth=2
                                        ; =>    This Inner Loop Header: Depth=3
	v_add_co_u32_e32 v22, vcc, v12, v14
	v_addc_co_u32_e32 v23, vcc, v3, v15, vcc
	flat_load_dword v7, v[22:23] glc slc
	flat_load_dword v24, v[22:23] offset:256 glc slc
	flat_load_dword v25, v[22:23] offset:512 glc slc
	;; [unrolled: 1-line block ×3, first 2 shown]
	v_add_co_u32_e32 v22, vcc, v12, v4
	v_addc_co_u32_e32 v23, vcc, v3, v5, vcc
	v_add_co_u32_e32 v14, vcc, v14, v31
	v_addc_co_u32_e32 v15, vcc, v15, v1, vcc
	v_add_co_u32_e32 v4, vcc, v4, v31
	v_sub_u32_e32 v19, v19, v36
	v_addc_co_u32_e32 v5, vcc, v5, v1, vcc
	v_cmp_gt_i32_e32 vcc, 1, v19
	s_or_b64 s[38:39], vcc, s[38:39]
	s_waitcnt vmcnt(0) lgkmcnt(0)
	flat_store_dword v[22:23], v7 glc slc
	flat_store_dword v[22:23], v24 offset:256 glc slc
	flat_store_dword v[22:23], v25 offset:512 glc slc
	;; [unrolled: 1-line block ×3, first 2 shown]
	s_andn2_b64 exec, exec, s[38:39]
	s_cbranch_execnz .LBB4_147
; %bb.148:                              ;   in Loop: Header=BB4_57 Depth=2
	s_or_b64 exec, exec, s[38:39]
.LBB4_149:                              ;   in Loop: Header=BB4_57 Depth=2
	s_or_b64 exec, exec, s[36:37]
	v_lshlrev_b32_e32 v3, 10, v21
	v_cmp_ne_u32_e32 vcc, v17, v3
	s_and_saveexec_b64 s[36:37], vcc
	s_cbranch_execz .LBB4_153
; %bb.150:                              ;   in Loop: Header=BB4_57 Depth=2
	v_add_u32_e32 v4, v18, v20
	v_and_b32_e32 v4, 0xffffffc0, v4
	v_sub_u32_e32 v4, v18, v4
	v_lshlrev_b32_e32 v5, 6, v19
	v_sub_u32_e32 v4, v4, v5
	v_ashrrev_i32_e32 v5, 31, v4
	v_lshrrev_b32_e32 v5, 26, v5
	v_add_u32_e32 v5, v4, v5
	v_and_b32_e32 v7, 0x3fffffc0, v5
	v_sub_u32_e32 v4, v4, v7
	v_lshlrev_b32_e32 v5, 2, v5
	v_and_b32_e32 v5, 0xffffff00, v5
	v_lshlrev_b32_e32 v4, 2, v4
	v_add3_u32 v3, v5, v4, v3
	v_sub_u32_e32 v14, v17, v3
	v_cmp_lt_i32_e32 vcc, 3, v14
	s_and_b64 exec, exec, vcc
	s_cbranch_execz .LBB4_153
; %bb.151:                              ;   in Loop: Header=BB4_57 Depth=2
	s_trap 2
	ds_read_b64 v[4:5], v0
	v_add_u32_e32 v12, v3, v13
	v_ashrrev_i32_e32 v3, 31, v12
	s_mov_b64 s[38:39], 0
.LBB4_152:                              ;   Parent Loop BB4_47 Depth=1
                                        ;     Parent Loop BB4_57 Depth=2
                                        ; =>    This Inner Loop Header: Depth=3
	s_waitcnt lgkmcnt(0)
	v_add_co_u32_e32 v18, vcc, v4, v12
	v_addc_co_u32_e32 v19, vcc, v5, v3, vcc
	flat_load_dword v7, v[18:19] glc slc
	v_add_co_u32_e32 v12, vcc, v12, v42
	v_sub_u32_e32 v14, v14, v37
	v_addc_co_u32_e32 v3, vcc, v3, v43, vcc
	v_cmp_gt_i32_e32 vcc, 4, v14
	s_or_b64 s[38:39], vcc, s[38:39]
	s_waitcnt vmcnt(0) lgkmcnt(0)
	flat_store_dword v[18:19], v7 glc slc
	s_andn2_b64 exec, exec, s[38:39]
	s_cbranch_execnz .LBB4_152
.LBB4_153:                              ;   in Loop: Header=BB4_57 Depth=2
	s_or_b64 exec, exec, s[36:37]
.LBB4_154:                              ;   in Loop: Header=BB4_57 Depth=2
	s_or_b64 exec, exec, s[26:27]
	v_accvgpr_read_b32 v18, a18
	v_accvgpr_read_b32 v19, a19
	s_and_saveexec_b64 s[26:27], s[10:11]
	s_cbranch_execz .LBB4_127
.LBB4_155:                              ;   in Loop: Header=BB4_57 Depth=2
	s_and_saveexec_b64 vcc, s[52:53]
	s_xor_b64 s[36:37], exec, vcc
	s_cbranch_execz .LBB4_170
; %bb.156:                              ;   in Loop: Header=BB4_57 Depth=2
	s_and_saveexec_b64 s[38:39], s[16:17]
	s_cbranch_execz .LBB4_169
; %bb.157:                              ;   in Loop: Header=BB4_57 Depth=2
	s_mov_b64 s[42:43], exec
	v_mbcnt_lo_u32_b32 v3, s42, 0
	v_mbcnt_hi_u32_b32 v3, s43, v3
	v_cmp_eq_u32_e32 vcc, 0, v3
	s_waitcnt vmcnt(0) lgkmcnt(0)
	buffer_wbinvl1_vol
	s_and_saveexec_b64 s[40:41], vcc
	s_cbranch_execz .LBB4_159
; %bb.158:                              ;   in Loop: Header=BB4_57 Depth=2
	s_bcnt1_i32_b64 vcc_lo, s[42:43]
	v_mov_b32_e32 v4, vcc_lo
	v_mov_b32_e32 v5, v6
	ds_add_u64 v0, v[4:5]
	s_trap 2
.LBB4_159:                              ;   in Loop: Header=BB4_57 Depth=2
	s_or_b64 exec, exec, s[40:41]
	s_trap 2
	ds_read_b64 v[4:5], v0
	v_add_co_u32_e32 v48, vcc, v48, v36
	v_addc_co_u32_e32 v49, vcc, 0, v49, vcc
	s_waitcnt lgkmcnt(0)
	v_cmp_lt_u64_e32 vcc, v[4:5], v[48:49]
	s_and_saveexec_b64 s[40:41], vcc
	s_cbranch_execz .LBB4_168
; %bb.160:                              ;   in Loop: Header=BB4_57 Depth=2
	s_mov_b32 s67, 0
	s_mov_b64 s[42:43], 0
                                        ; implicit-def: $sgpr44_sgpr45
                                        ; implicit-def: $sgpr60_sgpr61
	s_branch .LBB4_162
.LBB4_161:                              ;   in Loop: Header=BB4_162 Depth=3
	s_or_b64 exec, exec, s[64:65]
	s_and_b64 vcc, exec, vcc
	s_or_b64 s[42:43], vcc, s[42:43]
	s_andn2_b64 vcc, s[44:45], exec
	s_and_b64 s[44:45], s[60:61], exec
	s_or_b64 s[44:45], vcc, s[44:45]
	s_andn2_b64 exec, exec, s[42:43]
	s_cbranch_execz .LBB4_166
.LBB4_162:                              ;   Parent Loop BB4_47 Depth=1
                                        ;     Parent Loop BB4_57 Depth=2
                                        ; =>    This Inner Loop Header: Depth=3
	s_add_i32 s67, s67, 1
	s_cmpk_lg_i32 s67, 0x2710
	s_cselect_b64 s[62:63], -1, 0
	s_and_b64 vcc, exec, s[62:63]
                                        ; implicit-def: $sgpr64_sgpr65
	s_cbranch_vccnz .LBB4_164
; %bb.163:                              ;   in Loop: Header=BB4_162 Depth=3
	s_trap 2
	ds_read_b64 v[4:5], v0
	s_andn2_b64 s[62:63], s[62:63], exec
	s_mov_b32 s67, 0
	s_mov_b64 s[64:65], -1
	s_waitcnt lgkmcnt(0)
	flat_load_dword v3, v[4:5] glc
	s_waitcnt vmcnt(0) lgkmcnt(0)
	buffer_invl2
	buffer_wbinvl1_vol
	v_cmp_eq_u32_e32 vcc, 0, v3
	s_and_b64 vcc, vcc, exec
	s_or_b64 s[62:63], s[62:63], vcc
.LBB4_164:                              ;   in Loop: Header=BB4_162 Depth=3
	s_andn2_b64 s[60:61], s[60:61], exec
	s_and_b64 s[64:65], s[64:65], exec
	s_mov_b64 vcc, -1
	s_or_b64 s[60:61], s[60:61], s[64:65]
	s_and_saveexec_b64 s[64:65], s[62:63]
	s_cbranch_execz .LBB4_161
; %bb.165:                              ;   in Loop: Header=BB4_162 Depth=3
	s_sleep 1
	s_trap 2
	ds_read_b64 v[4:5], v0
	s_andn2_b64 s[60:61], s[60:61], exec
	s_waitcnt lgkmcnt(0)
	v_cmp_ge_u64_e32 vcc, v[4:5], v[48:49]
	s_orn2_b64 vcc, vcc, exec
	s_branch .LBB4_161
.LBB4_166:                              ;   in Loop: Header=BB4_57 Depth=2
	s_or_b64 exec, exec, s[42:43]
	s_and_saveexec_b64 vcc, s[44:45]
	s_xor_b64 vcc, exec, vcc
	s_cbranch_execz .LBB4_168
; %bb.167:                              ;   in Loop: Header=BB4_57 Depth=2
	ds_write_b32 v0, v46
	s_trap 2
.LBB4_168:                              ;   in Loop: Header=BB4_57 Depth=2
	s_or_b64 exec, exec, s[40:41]
	;;#ASMSTART
	s_wakeup
	;;#ASMEND
.LBB4_169:                              ;   in Loop: Header=BB4_57 Depth=2
	s_or_b64 exec, exec, s[38:39]
.LBB4_170:                              ;   in Loop: Header=BB4_57 Depth=2
	s_andn2_saveexec_b64 vcc, s[36:37]
	s_cbranch_execz .LBB4_172
; %bb.171:                              ;   in Loop: Header=BB4_57 Depth=2
	s_waitcnt vmcnt(0) lgkmcnt(0)
	buffer_wbinvl1_vol
	s_barrier
.LBB4_172:                              ;   in Loop: Header=BB4_57 Depth=2
	s_or_b64 exec, exec, vcc
	s_or_b64 exec, exec, s[26:27]
                                        ; implicit-def: $vgpr3
	s_and_saveexec_b64 s[26:27], s[24:25]
	s_xor_b64 s[36:37], exec, s[26:27]
	s_cbranch_execnz .LBB4_128
.LBB4_173:                              ;   in Loop: Header=BB4_57 Depth=2
	s_andn2_saveexec_b64 s[26:27], s[36:37]
	s_cbranch_execz .LBB4_131
.LBB4_174:                              ;   in Loop: Header=BB4_57 Depth=2
	s_and_saveexec_b64 vcc, s[52:53]
	s_xor_b64 s[36:37], exec, vcc
	s_cbranch_execz .LBB4_189
; %bb.175:                              ;   in Loop: Header=BB4_57 Depth=2
	s_and_saveexec_b64 s[38:39], s[16:17]
	s_cbranch_execz .LBB4_188
; %bb.176:                              ;   in Loop: Header=BB4_57 Depth=2
	s_mov_b64 s[42:43], exec
	v_mbcnt_lo_u32_b32 v3, s42, 0
	v_mbcnt_hi_u32_b32 v3, s43, v3
	v_cmp_eq_u32_e32 vcc, 0, v3
	;;#ASMSTART
	s_waitcnt lgkmcnt(0) vmcnt(0)
	;;#ASMEND
	s_and_saveexec_b64 s[40:41], vcc
	s_cbranch_execz .LBB4_178
; %bb.177:                              ;   in Loop: Header=BB4_57 Depth=2
	s_bcnt1_i32_b64 vcc_lo, s[42:43]
	v_mov_b32_e32 v4, vcc_lo
	v_mov_b32_e32 v5, v6
	ds_add_u64 v0, v[4:5]
	s_trap 2
.LBB4_178:                              ;   in Loop: Header=BB4_57 Depth=2
	s_or_b64 exec, exec, s[40:41]
	s_trap 2
	ds_read_b64 v[4:5], v0
	v_add_co_u32_e32 v48, vcc, v48, v36
	v_addc_co_u32_e32 v49, vcc, 0, v49, vcc
	s_waitcnt lgkmcnt(0)
	v_cmp_lt_u64_e32 vcc, v[4:5], v[48:49]
	s_and_saveexec_b64 s[40:41], vcc
	s_cbranch_execz .LBB4_187
; %bb.179:                              ;   in Loop: Header=BB4_57 Depth=2
	s_mov_b32 s67, 0
	s_mov_b64 s[42:43], 0
                                        ; implicit-def: $sgpr44_sgpr45
                                        ; implicit-def: $sgpr60_sgpr61
	s_branch .LBB4_181
.LBB4_180:                              ;   in Loop: Header=BB4_181 Depth=3
	s_or_b64 exec, exec, s[64:65]
	s_and_b64 vcc, exec, vcc
	s_or_b64 s[42:43], vcc, s[42:43]
	s_andn2_b64 vcc, s[44:45], exec
	s_and_b64 s[44:45], s[60:61], exec
	s_or_b64 s[44:45], vcc, s[44:45]
	s_andn2_b64 exec, exec, s[42:43]
	s_cbranch_execz .LBB4_185
.LBB4_181:                              ;   Parent Loop BB4_47 Depth=1
                                        ;     Parent Loop BB4_57 Depth=2
                                        ; =>    This Inner Loop Header: Depth=3
	s_add_i32 s67, s67, 1
	s_cmpk_lg_i32 s67, 0x2710
	s_cselect_b64 s[62:63], -1, 0
	s_and_b64 vcc, exec, s[62:63]
                                        ; implicit-def: $sgpr64_sgpr65
	s_cbranch_vccnz .LBB4_183
; %bb.182:                              ;   in Loop: Header=BB4_181 Depth=3
	s_trap 2
	ds_read_b64 v[4:5], v0
	s_andn2_b64 s[62:63], s[62:63], exec
	s_mov_b32 s67, 0
	s_mov_b64 s[64:65], -1
	s_waitcnt vmcnt(0) lgkmcnt(0)
	flat_load_dword v3, v[4:5] glc
	s_waitcnt vmcnt(0) lgkmcnt(0)
	buffer_invl2
	buffer_wbinvl1_vol
	v_cmp_eq_u32_e32 vcc, 0, v3
	s_and_b64 vcc, vcc, exec
	s_or_b64 s[62:63], s[62:63], vcc
.LBB4_183:                              ;   in Loop: Header=BB4_181 Depth=3
	s_andn2_b64 s[60:61], s[60:61], exec
	s_and_b64 s[64:65], s[64:65], exec
	s_mov_b64 vcc, -1
	s_or_b64 s[60:61], s[60:61], s[64:65]
	s_and_saveexec_b64 s[64:65], s[62:63]
	s_cbranch_execz .LBB4_180
; %bb.184:                              ;   in Loop: Header=BB4_181 Depth=3
	s_sleep 1
	s_trap 2
	ds_read_b64 v[4:5], v0
	s_andn2_b64 s[60:61], s[60:61], exec
	s_waitcnt lgkmcnt(0)
	v_cmp_ge_u64_e32 vcc, v[4:5], v[48:49]
	s_orn2_b64 vcc, vcc, exec
	s_branch .LBB4_180
.LBB4_185:                              ;   in Loop: Header=BB4_57 Depth=2
	s_or_b64 exec, exec, s[42:43]
	s_and_saveexec_b64 vcc, s[44:45]
	s_xor_b64 vcc, exec, vcc
	s_cbranch_execz .LBB4_187
; %bb.186:                              ;   in Loop: Header=BB4_57 Depth=2
	ds_write_b32 v0, v46
	s_trap 2
.LBB4_187:                              ;   in Loop: Header=BB4_57 Depth=2
	s_or_b64 exec, exec, s[40:41]
	;;#ASMSTART
	s_wakeup
	;;#ASMEND
.LBB4_188:                              ;   in Loop: Header=BB4_57 Depth=2
	s_or_b64 exec, exec, s[38:39]
.LBB4_189:                              ;   in Loop: Header=BB4_57 Depth=2
	s_andn2_saveexec_b64 vcc, s[36:37]
	s_cbranch_execz .LBB4_191
; %bb.190:                              ;   in Loop: Header=BB4_57 Depth=2
	;;#ASMSTART
	s_waitcnt lgkmcnt(0) vmcnt(0)
	;;#ASMEND
	s_barrier
.LBB4_191:                              ;   in Loop: Header=BB4_57 Depth=2
	s_or_b64 exec, exec, vcc
	v_and_b32_e32 v3, 16, v62
	s_or_b64 exec, exec, s[26:27]
	v_cmp_ne_u32_e32 vcc, 0, v3
	s_and_saveexec_b64 s[26:27], vcc
	s_cbranch_execz .LBB4_56
.LBB4_192:                              ;   in Loop: Header=BB4_57 Depth=2
	s_and_saveexec_b64 vcc, s[14:15]
	s_cbranch_execz .LBB4_55
; %bb.193:                              ;   in Loop: Header=BB4_57 Depth=2
	flat_store_dword v[38:39], v46
	s_branch .LBB4_55
.LBB4_194:                              ;   in Loop: Header=BB4_47 Depth=1
	s_or_b64 exec, exec, s[30:31]
.LBB4_195:                              ;   in Loop: Header=BB4_47 Depth=1
	s_or_b64 exec, exec, s[28:29]
	v_cmp_gt_i32_e32 vcc, 2, v3
	s_and_saveexec_b64 s[28:29], vcc
	s_cbranch_execz .LBB4_267
; %bb.196:                              ;   in Loop: Header=BB4_47 Depth=1
	v_cmp_eq_u32_e64 s[26:27], 0, v3
	s_mov_b64 s[30:31], 0
	s_branch .LBB4_199
.LBB4_197:                              ;   in Loop: Header=BB4_199 Depth=2
	s_or_b64 exec, exec, vcc
	v_add_co_u32_e32 v32, vcc, 2, v32
	v_addc_co_u32_e32 v33, vcc, 0, v33, vcc
	flat_store_dwordx2 v[34:35], v[32:33]
.LBB4_198:                              ;   in Loop: Header=BB4_199 Depth=2
	s_or_b64 exec, exec, s[26:27]
	v_add_u32_e32 v8, v2, v8
	s_mov_b64 s[26:27], 0
	s_andn2_b64 exec, exec, s[30:31]
	s_cbranch_execz .LBB4_266
.LBB4_199:                              ;   Parent Loop BB4_47 Depth=1
                                        ; =>  This Loop Header: Depth=2
                                        ;       Child Loop BB4_205 Depth 3
                                        ;       Child Loop BB4_234 Depth 3
	;; [unrolled: 1-line block ×3, first 2 shown]
	v_and_b32_e32 v3, 8, v62
	s_mov_b64 s[36:37], -1
	v_cmp_ne_u32_e32 vcc, 0, v3
	s_and_saveexec_b64 s[34:35], vcc
	s_cbranch_execz .LBB4_211
; %bb.200:                              ;   in Loop: Header=BB4_199 Depth=2
	v_add_co_u32_e32 v10, vcc, 8, v50
	v_addc_co_u32_e32 v11, vcc, 0, v51, vcc
	v_add_co_u32_e32 v4, vcc, 2, v32
	v_addc_co_u32_e32 v5, vcc, 0, v33, vcc
	v_cmp_lt_u64_e32 vcc, v[10:11], v[4:5]
	v_mov_b32_e32 v3, 1
	s_and_saveexec_b64 s[36:37], vcc
	s_cbranch_execz .LBB4_210
; %bb.201:                              ;   in Loop: Header=BB4_199 Depth=2
	s_mov_b64 s[38:39], 0
	v_mov_b32_e32 v3, 0
                                        ; implicit-def: $sgpr40_sgpr41
	s_branch .LBB4_205
.LBB4_202:                              ;   in Loop: Header=BB4_205 Depth=3
	s_or_b64 exec, exec, s[62:63]
	v_mov_b32_e32 v9, 0
	s_orn2_b64 s[60:61], s[60:61], exec
.LBB4_203:                              ;   in Loop: Header=BB4_205 Depth=3
	s_or_b64 exec, exec, s[44:45]
	s_andn2_b64 vcc, s[40:41], exec
	s_and_b64 s[40:41], s[60:61], exec
	s_or_b64 s[40:41], vcc, s[40:41]
	v_mov_b32_e32 v3, v9
.LBB4_204:                              ;   in Loop: Header=BB4_205 Depth=3
	s_or_b64 exec, exec, s[42:43]
	s_waitcnt vmcnt(0) lgkmcnt(0)
	v_add_co_u32_e32 v10, vcc, 8, v50
	v_addc_co_u32_e32 v11, vcc, 0, v51, vcc
	v_cmp_ge_u64_e32 vcc, v[10:11], v[4:5]
	s_xor_b64 s[42:43], s[40:41], -1
	s_or_b64 vcc, s[42:43], vcc
	s_and_b64 vcc, exec, vcc
	s_or_b64 s[38:39], vcc, s[38:39]
	s_andn2_b64 exec, exec, s[38:39]
	s_cbranch_execz .LBB4_209
.LBB4_205:                              ;   Parent Loop BB4_47 Depth=1
                                        ;     Parent Loop BB4_199 Depth=2
                                        ; =>    This Inner Loop Header: Depth=3
	s_sleep 1
	flat_load_dwordx2 v[50:51], v[34:35] glc
	v_and_b32_e32 v7, 64, v62
	v_cmp_eq_u32_e32 vcc, 0, v7
	s_andn2_b64 s[40:41], s[40:41], exec
	s_and_saveexec_b64 s[42:43], vcc
	s_cbranch_execz .LBB4_204
; %bb.206:                              ;   in Loop: Header=BB4_205 Depth=3
	v_add_u32_e32 v9, 1, v3
	v_cmp_lt_i32_e32 vcc, s83, v3
	s_mov_b64 s[60:61], -1
	s_and_saveexec_b64 s[44:45], vcc
	s_cbranch_execz .LBB4_203
; %bb.207:                              ;   in Loop: Header=BB4_205 Depth=3
	s_trap 2
	ds_read_b64 v[10:11], v0
	s_waitcnt vmcnt(0) lgkmcnt(0)
	flat_load_dword v3, v[10:11] glc
	s_waitcnt vmcnt(0) lgkmcnt(0)
	buffer_invl2
	buffer_wbinvl1_vol
	v_cmp_ne_u32_e32 vcc, 0, v3
	s_and_saveexec_b64 s[62:63], vcc
	s_cbranch_execz .LBB4_202
; %bb.208:                              ;   in Loop: Header=BB4_205 Depth=3
	v_or_b32_e32 v62, 64, v62
	s_xor_b64 s[60:61], exec, -1
	ds_write_b32 v0, v3
	s_trap 2
	s_branch .LBB4_202
.LBB4_209:                              ;   in Loop: Header=BB4_199 Depth=2
	s_or_b64 exec, exec, s[38:39]
	v_and_b32_e32 v3, 8, v62
.LBB4_210:                              ;   in Loop: Header=BB4_199 Depth=2
	s_or_b64 exec, exec, s[36:37]
	v_cmp_eq_u32_e32 vcc, 0, v3
	s_orn2_b64 s[36:37], vcc, exec
	;;#ASMSTART
	s_wakeup
	;;#ASMEND
.LBB4_211:                              ;   in Loop: Header=BB4_199 Depth=2
	s_or_b64 exec, exec, s[34:35]
	s_xor_b64 s[26:27], s[26:27], -1
	s_and_b64 s[26:27], exec, s[26:27]
	s_or_b64 s[30:31], s[26:27], s[30:31]
	v_sub_u32_e32 v3, v16, v8
	s_xor_b64 s[26:27], s[36:37], -1
	v_min_i32_e32 v2, v2, v3
	s_and_saveexec_b64 s[34:35], s[26:27]
	s_cbranch_execz .LBB4_226
; %bb.212:                              ;   in Loop: Header=BB4_199 Depth=2
	v_and_b32_e32 v3, 0x100, v62
	v_cmp_ne_u32_e32 vcc, 0, v3
	v_and_b32_e32 v9, 7, v32
	s_mov_b64 s[26:27], -1
                                        ; implicit-def: $vgpr4_vgpr5
	s_and_saveexec_b64 s[36:37], vcc
	s_cbranch_execz .LBB4_216
; %bb.213:                              ;   in Loop: Header=BB4_199 Depth=2
	v_mad_u64_u32 v[10:11], s[26:27], v9, 24, v[44:45]
	flat_load_dword v7, v[10:11]
	v_ashrrev_i32_e32 v3, 31, v2
	v_lshlrev_b64 v[4:5], 2, v[2:3]
	flat_store_dwordx2 v[10:11], v[4:5] offset:8
                                        ; implicit-def: $vgpr4_vgpr5
	s_waitcnt vmcnt(0) lgkmcnt(0)
	v_cmp_ne_u32_e32 vcc, 1, v7
	v_cmp_eq_u32_e64 s[26:27], 1, v7
	s_and_saveexec_b64 s[38:39], s[26:27]
	s_cbranch_execz .LBB4_215
; %bb.214:                              ;   in Loop: Header=BB4_199 Depth=2
	flat_load_dword v4, v[10:11] offset:4 glc
	s_waitcnt vmcnt(0) lgkmcnt(0)
	v_ashrrev_i32_e32 v5, 31, v4
	v_lshrrev_b64 v[4:5], 2, v[4:5]
.LBB4_215:                              ;   in Loop: Header=BB4_199 Depth=2
	s_or_b64 exec, exec, s[38:39]
	s_orn2_b64 s[26:27], vcc, exec
.LBB4_216:                              ;   in Loop: Header=BB4_199 Depth=2
	s_or_b64 exec, exec, s[36:37]
	s_and_saveexec_b64 vcc, s[26:27]
; %bb.217:                              ;   in Loop: Header=BB4_199 Depth=2
	v_mad_i64_i32 v[4:5], s[26:27], v9, v30, 0
; %bb.218:                              ;   in Loop: Header=BB4_199 Depth=2
	s_or_b64 exec, exec, vcc
	v_lshlrev_b64 v[4:5], 2, v[4:5]
	v_add_co_u32_e32 v4, vcc, v40, v4
	v_addc_co_u32_e32 v5, vcc, v41, v5, vcc
	v_and_b32_e32 v3, 0x2000, v62
	v_cmp_ne_u32_e32 vcc, 0, v3
	ds_write_b64 v0, v[4:5] offset:784
	s_and_saveexec_b64 s[26:27], vcc
	s_cbranch_execz .LBB4_220
; %bb.219:                              ;   in Loop: Header=BB4_199 Depth=2
	ds_read_b64 v[4:5], v0 offset:584
	s_waitcnt lgkmcnt(0)
	v_add_co_u32_e32 v4, vcc, 1, v4
	v_addc_co_u32_e32 v5, vcc, 0, v5, vcc
	ds_write_b64 v0, v[4:5] offset:584
.LBB4_220:                              ;   in Loop: Header=BB4_199 Depth=2
	s_or_b64 exec, exec, s[26:27]
	v_add_co_u32_e32 v32, vcc, 2, v32
	v_addc_co_u32_e32 v33, vcc, 0, v33, vcc
	s_or_b64 exec, exec, s[34:35]
	s_and_saveexec_b64 s[26:27], s[10:11]
	s_cbranch_execnz .LBB4_227
.LBB4_221:                              ;   in Loop: Header=BB4_199 Depth=2
	s_or_b64 exec, exec, s[26:27]
                                        ; implicit-def: $vgpr3
	s_and_saveexec_b64 s[26:27], s[24:25]
	s_xor_b64 s[26:27], exec, s[26:27]
	s_cbranch_execz .LBB4_245
.LBB4_222:                              ;   in Loop: Header=BB4_199 Depth=2
	s_trap 2
	ds_read_b32 v4, v0
	v_cmp_lt_i32_e32 vcc, 0, v2
	v_and_b32_e32 v5, 16, v62
	v_and_b32_e32 v3, 16, v62
	s_waitcnt lgkmcnt(0)
	v_readfirstlane_b32 s34, v4
	s_cmp_eq_u32 s34, 0
	s_cselect_b64 s[34:35], -1, 0
	s_and_b64 s[34:35], vcc, s[34:35]
	v_cmp_ne_u32_e32 vcc, 0, v5
	s_and_b64 s[34:35], vcc, s[34:35]
	s_and_saveexec_b64 vcc, s[34:35]
	s_cbranch_execz .LBB4_224
; %bb.223:                              ;   in Loop: Header=BB4_199 Depth=2
	v_mov_b32_e32 v3, 1
	s_waitcnt vmcnt(0)
	buffer_wbinvl1_vol
.LBB4_224:                              ;   in Loop: Header=BB4_199 Depth=2
	s_or_b64 exec, exec, vcc
	s_andn2_saveexec_b64 s[26:27], s[26:27]
	s_cbranch_execnz .LBB4_246
.LBB4_225:                              ;   in Loop: Header=BB4_199 Depth=2
	s_or_b64 exec, exec, s[26:27]
	v_cmp_ne_u32_e32 vcc, 0, v3
	s_and_saveexec_b64 s[26:27], vcc
	s_cbranch_execz .LBB4_198
	s_branch .LBB4_264
.LBB4_226:                              ;   in Loop: Header=BB4_199 Depth=2
	s_or_b64 exec, exec, s[34:35]
	s_and_saveexec_b64 s[26:27], s[10:11]
	s_cbranch_execz .LBB4_221
.LBB4_227:                              ;   in Loop: Header=BB4_199 Depth=2
	s_and_saveexec_b64 vcc, s[52:53]
	s_xor_b64 s[34:35], exec, vcc
	s_cbranch_execz .LBB4_242
; %bb.228:                              ;   in Loop: Header=BB4_199 Depth=2
	s_and_saveexec_b64 s[36:37], s[16:17]
	s_cbranch_execz .LBB4_241
; %bb.229:                              ;   in Loop: Header=BB4_199 Depth=2
	s_mov_b64 s[40:41], exec
	v_mbcnt_lo_u32_b32 v3, s40, 0
	v_mbcnt_hi_u32_b32 v3, s41, v3
	v_cmp_eq_u32_e32 vcc, 0, v3
	s_waitcnt vmcnt(0) lgkmcnt(0)
	buffer_wbinvl1_vol
	s_and_saveexec_b64 s[38:39], vcc
	s_cbranch_execz .LBB4_231
; %bb.230:                              ;   in Loop: Header=BB4_199 Depth=2
	s_bcnt1_i32_b64 vcc_lo, s[40:41]
	v_mov_b32_e32 v4, vcc_lo
	v_mov_b32_e32 v5, v6
	ds_add_u64 v0, v[4:5]
	s_trap 2
.LBB4_231:                              ;   in Loop: Header=BB4_199 Depth=2
	s_or_b64 exec, exec, s[38:39]
	s_trap 2
	ds_read_b64 v[4:5], v0
	v_add_co_u32_e32 v48, vcc, v48, v36
	v_addc_co_u32_e32 v49, vcc, 0, v49, vcc
	s_waitcnt lgkmcnt(0)
	v_cmp_lt_u64_e32 vcc, v[4:5], v[48:49]
	s_and_saveexec_b64 s[38:39], vcc
	s_cbranch_execz .LBB4_240
; %bb.232:                              ;   in Loop: Header=BB4_199 Depth=2
	s_mov_b32 s64, 0
	s_mov_b64 s[40:41], 0
                                        ; implicit-def: $sgpr42_sgpr43
                                        ; implicit-def: $sgpr44_sgpr45
	s_branch .LBB4_234
.LBB4_233:                              ;   in Loop: Header=BB4_234 Depth=3
	s_or_b64 exec, exec, s[62:63]
	s_and_b64 vcc, exec, vcc
	s_or_b64 s[40:41], vcc, s[40:41]
	s_andn2_b64 vcc, s[42:43], exec
	s_and_b64 s[42:43], s[44:45], exec
	s_or_b64 s[42:43], vcc, s[42:43]
	s_andn2_b64 exec, exec, s[40:41]
	s_cbranch_execz .LBB4_238
.LBB4_234:                              ;   Parent Loop BB4_47 Depth=1
                                        ;     Parent Loop BB4_199 Depth=2
                                        ; =>    This Inner Loop Header: Depth=3
	s_add_i32 s64, s64, 1
	s_cmpk_lg_i32 s64, 0x2710
	s_cselect_b64 s[60:61], -1, 0
	s_and_b64 vcc, exec, s[60:61]
                                        ; implicit-def: $sgpr62_sgpr63
	s_cbranch_vccnz .LBB4_236
; %bb.235:                              ;   in Loop: Header=BB4_234 Depth=3
	s_trap 2
	ds_read_b64 v[4:5], v0
	s_andn2_b64 s[60:61], s[60:61], exec
	s_mov_b32 s64, 0
	s_mov_b64 s[62:63], -1
	s_waitcnt lgkmcnt(0)
	flat_load_dword v3, v[4:5] glc
	s_waitcnt vmcnt(0) lgkmcnt(0)
	buffer_invl2
	buffer_wbinvl1_vol
	v_cmp_eq_u32_e32 vcc, 0, v3
	s_and_b64 vcc, vcc, exec
	s_or_b64 s[60:61], s[60:61], vcc
.LBB4_236:                              ;   in Loop: Header=BB4_234 Depth=3
	s_andn2_b64 s[44:45], s[44:45], exec
	s_and_b64 s[62:63], s[62:63], exec
	s_mov_b64 vcc, -1
	s_or_b64 s[44:45], s[44:45], s[62:63]
	s_and_saveexec_b64 s[62:63], s[60:61]
	s_cbranch_execz .LBB4_233
; %bb.237:                              ;   in Loop: Header=BB4_234 Depth=3
	s_sleep 1
	s_trap 2
	ds_read_b64 v[4:5], v0
	s_andn2_b64 s[44:45], s[44:45], exec
	s_waitcnt lgkmcnt(0)
	v_cmp_ge_u64_e32 vcc, v[4:5], v[48:49]
	s_orn2_b64 vcc, vcc, exec
	s_branch .LBB4_233
.LBB4_238:                              ;   in Loop: Header=BB4_199 Depth=2
	s_or_b64 exec, exec, s[40:41]
	s_and_saveexec_b64 vcc, s[42:43]
	s_xor_b64 vcc, exec, vcc
	s_cbranch_execz .LBB4_240
; %bb.239:                              ;   in Loop: Header=BB4_199 Depth=2
	ds_write_b32 v0, v46
	s_trap 2
.LBB4_240:                              ;   in Loop: Header=BB4_199 Depth=2
	s_or_b64 exec, exec, s[38:39]
	;;#ASMSTART
	s_wakeup
	;;#ASMEND
.LBB4_241:                              ;   in Loop: Header=BB4_199 Depth=2
	s_or_b64 exec, exec, s[36:37]
.LBB4_242:                              ;   in Loop: Header=BB4_199 Depth=2
	s_andn2_saveexec_b64 vcc, s[34:35]
	s_cbranch_execz .LBB4_244
; %bb.243:                              ;   in Loop: Header=BB4_199 Depth=2
	s_waitcnt vmcnt(0) lgkmcnt(0)
	buffer_wbinvl1_vol
	s_barrier
.LBB4_244:                              ;   in Loop: Header=BB4_199 Depth=2
	s_or_b64 exec, exec, vcc
	s_or_b64 exec, exec, s[26:27]
                                        ; implicit-def: $vgpr3
	s_and_saveexec_b64 s[26:27], s[24:25]
	s_xor_b64 s[26:27], exec, s[26:27]
	s_cbranch_execnz .LBB4_222
.LBB4_245:                              ;   in Loop: Header=BB4_199 Depth=2
	s_andn2_saveexec_b64 s[26:27], s[26:27]
	s_cbranch_execz .LBB4_225
.LBB4_246:                              ;   in Loop: Header=BB4_199 Depth=2
	s_and_saveexec_b64 vcc, s[52:53]
	s_xor_b64 s[34:35], exec, vcc
	s_cbranch_execz .LBB4_261
; %bb.247:                              ;   in Loop: Header=BB4_199 Depth=2
	s_and_saveexec_b64 s[36:37], s[16:17]
	s_cbranch_execz .LBB4_260
; %bb.248:                              ;   in Loop: Header=BB4_199 Depth=2
	s_mov_b64 s[40:41], exec
	v_mbcnt_lo_u32_b32 v3, s40, 0
	v_mbcnt_hi_u32_b32 v3, s41, v3
	v_cmp_eq_u32_e32 vcc, 0, v3
	;;#ASMSTART
	s_waitcnt lgkmcnt(0) vmcnt(0)
	;;#ASMEND
	s_and_saveexec_b64 s[38:39], vcc
	s_cbranch_execz .LBB4_250
; %bb.249:                              ;   in Loop: Header=BB4_199 Depth=2
	s_bcnt1_i32_b64 vcc_lo, s[40:41]
	v_mov_b32_e32 v4, vcc_lo
	v_mov_b32_e32 v5, v6
	ds_add_u64 v0, v[4:5]
	s_trap 2
.LBB4_250:                              ;   in Loop: Header=BB4_199 Depth=2
	s_or_b64 exec, exec, s[38:39]
	s_trap 2
	ds_read_b64 v[4:5], v0
	v_add_co_u32_e32 v48, vcc, v48, v36
	v_addc_co_u32_e32 v49, vcc, 0, v49, vcc
	s_waitcnt lgkmcnt(0)
	v_cmp_lt_u64_e32 vcc, v[4:5], v[48:49]
	s_and_saveexec_b64 s[38:39], vcc
	s_cbranch_execz .LBB4_259
; %bb.251:                              ;   in Loop: Header=BB4_199 Depth=2
	s_mov_b32 s64, 0
	s_mov_b64 s[40:41], 0
                                        ; implicit-def: $sgpr42_sgpr43
                                        ; implicit-def: $sgpr44_sgpr45
	s_branch .LBB4_253
.LBB4_252:                              ;   in Loop: Header=BB4_253 Depth=3
	s_or_b64 exec, exec, s[62:63]
	s_and_b64 vcc, exec, vcc
	s_or_b64 s[40:41], vcc, s[40:41]
	s_andn2_b64 vcc, s[42:43], exec
	s_and_b64 s[42:43], s[44:45], exec
	s_or_b64 s[42:43], vcc, s[42:43]
	s_andn2_b64 exec, exec, s[40:41]
	s_cbranch_execz .LBB4_257
.LBB4_253:                              ;   Parent Loop BB4_47 Depth=1
                                        ;     Parent Loop BB4_199 Depth=2
                                        ; =>    This Inner Loop Header: Depth=3
	s_add_i32 s64, s64, 1
	s_cmpk_lg_i32 s64, 0x2710
	s_cselect_b64 s[60:61], -1, 0
	s_and_b64 vcc, exec, s[60:61]
                                        ; implicit-def: $sgpr62_sgpr63
	s_cbranch_vccnz .LBB4_255
; %bb.254:                              ;   in Loop: Header=BB4_253 Depth=3
	s_trap 2
	ds_read_b64 v[4:5], v0
	s_andn2_b64 s[60:61], s[60:61], exec
	s_mov_b32 s64, 0
	s_mov_b64 s[62:63], -1
	s_waitcnt vmcnt(0) lgkmcnt(0)
	flat_load_dword v3, v[4:5] glc
	s_waitcnt vmcnt(0) lgkmcnt(0)
	buffer_invl2
	buffer_wbinvl1_vol
	v_cmp_eq_u32_e32 vcc, 0, v3
	s_and_b64 vcc, vcc, exec
	s_or_b64 s[60:61], s[60:61], vcc
.LBB4_255:                              ;   in Loop: Header=BB4_253 Depth=3
	s_andn2_b64 s[44:45], s[44:45], exec
	s_and_b64 s[62:63], s[62:63], exec
	s_mov_b64 vcc, -1
	s_or_b64 s[44:45], s[44:45], s[62:63]
	s_and_saveexec_b64 s[62:63], s[60:61]
	s_cbranch_execz .LBB4_252
; %bb.256:                              ;   in Loop: Header=BB4_253 Depth=3
	s_sleep 1
	s_trap 2
	ds_read_b64 v[4:5], v0
	s_andn2_b64 s[44:45], s[44:45], exec
	s_waitcnt lgkmcnt(0)
	v_cmp_ge_u64_e32 vcc, v[4:5], v[48:49]
	s_orn2_b64 vcc, vcc, exec
	s_branch .LBB4_252
.LBB4_257:                              ;   in Loop: Header=BB4_199 Depth=2
	s_or_b64 exec, exec, s[40:41]
	s_and_saveexec_b64 vcc, s[42:43]
	s_xor_b64 vcc, exec, vcc
	s_cbranch_execz .LBB4_259
; %bb.258:                              ;   in Loop: Header=BB4_199 Depth=2
	ds_write_b32 v0, v46
	s_trap 2
.LBB4_259:                              ;   in Loop: Header=BB4_199 Depth=2
	s_or_b64 exec, exec, s[38:39]
	;;#ASMSTART
	s_wakeup
	;;#ASMEND
.LBB4_260:                              ;   in Loop: Header=BB4_199 Depth=2
	s_or_b64 exec, exec, s[36:37]
.LBB4_261:                              ;   in Loop: Header=BB4_199 Depth=2
	s_andn2_saveexec_b64 vcc, s[34:35]
	s_cbranch_execz .LBB4_263
; %bb.262:                              ;   in Loop: Header=BB4_199 Depth=2
	;;#ASMSTART
	s_waitcnt lgkmcnt(0) vmcnt(0)
	;;#ASMEND
	s_barrier
.LBB4_263:                              ;   in Loop: Header=BB4_199 Depth=2
	s_or_b64 exec, exec, vcc
	v_and_b32_e32 v3, 16, v62
	s_or_b64 exec, exec, s[26:27]
	v_cmp_ne_u32_e32 vcc, 0, v3
	s_and_saveexec_b64 s[26:27], vcc
	s_cbranch_execz .LBB4_198
.LBB4_264:                              ;   in Loop: Header=BB4_199 Depth=2
	s_and_saveexec_b64 vcc, s[14:15]
	s_cbranch_execz .LBB4_197
; %bb.265:                              ;   in Loop: Header=BB4_199 Depth=2
	flat_store_dword v[38:39], v46
	s_branch .LBB4_197
.LBB4_266:                              ;   in Loop: Header=BB4_47 Depth=1
	s_or_b64 exec, exec, s[30:31]
.LBB4_267:                              ;   in Loop: Header=BB4_47 Depth=1
	s_or_b64 exec, exec, s[28:29]
	v_cndmask_b32_e64 v2, 0, 1, s[54:55]
	v_cmp_ne_u32_e64 s[26:27], 1, v2
	s_andn2_b64 vcc, exec, s[54:55]
	s_cbranch_vccnz .LBB4_493
; %bb.268:                              ;   in Loop: Header=BB4_47 Depth=1
	s_mov_b32 s68, 2
	s_branch .LBB4_271
.LBB4_269:                              ;   in Loop: Header=BB4_271 Depth=2
	s_or_b64 exec, exec, s[34:35]
.LBB4_270:                              ;   in Loop: Header=BB4_271 Depth=2
	s_or_b64 exec, exec, s[30:31]
	s_add_i32 s68, s68, 1
	s_cmp_eq_u32 s68, s72
	s_cbranch_scc1 .LBB4_492
.LBB4_271:                              ;   Parent Loop BB4_47 Depth=1
                                        ; =>  This Loop Header: Depth=2
                                        ;       Child Loop BB4_274 Depth 3
                                        ;         Child Loop BB4_282 Depth 4
                                        ;         Child Loop BB4_310 Depth 4
	;; [unrolled: 1-line block ×9, first 2 shown]
                                        ;       Child Loop BB4_420 Depth 3
                                        ;         Child Loop BB4_426 Depth 4
                                        ;         Child Loop BB4_466 Depth 4
	;; [unrolled: 1-line block ×3, first 2 shown]
	s_sub_i32 s28, s76, s68
	s_cmp_le_i32 s72, s28
	s_cselect_b32 s29, s72, 0
	s_sub_i32 s28, s28, s29
	v_accvgpr_read_b32 v8, a30
	s_ashr_i32 s29, s28, 31
	v_accvgpr_read_b32 v9, a31
	v_mul_lo_u32 v2, v8, s29
	v_mul_lo_u32 v3, v9, s28
	v_mad_u64_u32 v[4:5], s[28:29], v8, s28, 0
	v_add3_u32 v5, v5, v2, v3
	v_accvgpr_read_b32 v2, a32
	v_accvgpr_read_b32 v3, a33
	v_sub_co_u32_e32 v2, vcc, v2, v4
	v_subb_co_u32_e32 v3, vcc, v3, v5, vcc
	v_cmp_lt_i64_e32 vcc, v[8:9], v[2:3]
	v_cndmask_b32_e32 v3, v2, v8, vcc
	v_max_i32_e32 v18, 0, v3
	v_add_u32_e32 v2, 31, v18
	v_lshrrev_b32_e32 v2, 1, v2
	v_and_b32_e32 v2, 0x3ffffff0, v2
	v_cmp_lt_i32_e32 vcc, 0, v3
	v_max_i32_e32 v2, s79, v2
	s_and_b64 s[28:29], s[58:59], vcc
	v_mov_b32_e32 v3, 0
	v_mov_b32_e32 v8, 0
	s_and_saveexec_b64 s[30:31], s[28:29]
	s_cbranch_execz .LBB4_416
; %bb.272:                              ;   in Loop: Header=BB4_271 Depth=2
	s_mov_b32 s69, 1
	s_mov_b64 s[36:37], -1
	s_mov_b64 s[34:35], 0
	v_mov_b32_e32 v8, 0
	v_lshlrev_b64 v[10:11], 2, v[4:5]
	s_branch .LBB4_274
.LBB4_273:                              ;   in Loop: Header=BB4_274 Depth=3
	s_or_b64 exec, exec, s[28:29]
	v_add_u32_e32 v8, v2, v8
	v_cmp_ge_i32_e32 vcc, v8, v18
	s_xor_b64 s[28:29], s[36:37], -1
	s_or_b64 s[28:29], s[28:29], vcc
	s_and_b64 s[28:29], exec, s[28:29]
	s_or_b64 s[34:35], s[28:29], s[34:35]
	s_mov_b64 s[36:37], 0
	v_mov_b32_e32 v3, s69
	s_mov_b32 s69, 2
	s_andn2_b64 exec, exec, s[34:35]
	s_cbranch_execz .LBB4_417
.LBB4_274:                              ;   Parent Loop BB4_47 Depth=1
                                        ;     Parent Loop BB4_271 Depth=2
                                        ; =>    This Loop Header: Depth=3
                                        ;         Child Loop BB4_282 Depth 4
                                        ;         Child Loop BB4_310 Depth 4
	;; [unrolled: 1-line block ×9, first 2 shown]
	s_and_saveexec_b64 s[28:29], s[4:5]
	s_cbranch_execz .LBB4_276
; %bb.275:                              ;   in Loop: Header=BB4_274 Depth=3
	s_trap 2
	ds_read_b64 v[4:5], v0
	v_accvgpr_read_b32 v12, a34
	v_accvgpr_read_b32 v13, a35
	v_lshlrev_b64 v[12:13], 2, v[12:13]
	v_ashrrev_i32_e32 v9, 31, v8
	s_waitcnt lgkmcnt(0)
	v_add_co_u32_e32 v3, vcc, v4, v12
	v_addc_co_u32_e32 v4, vcc, v5, v13, vcc
	v_add_co_u32_e32 v3, vcc, v3, v10
	v_addc_co_u32_e32 v7, vcc, v4, v11, vcc
	v_lshlrev_b64 v[4:5], 2, v[8:9]
	v_add_co_u32_e32 v4, vcc, v3, v4
	v_addc_co_u32_e32 v5, vcc, v7, v5, vcc
	v_mov_b32_e32 v7, v6
	ds_write_b64 v0, v[4:5]
	ds_write_b64 v0, v[6:7]
.LBB4_276:                              ;   in Loop: Header=BB4_274 Depth=3
	s_or_b64 exec, exec, s[28:29]
	v_and_b32_e32 v3, 12, v62
	v_cmp_ne_u32_e32 vcc, 0, v3
	s_mov_b64 s[38:39], -1
	s_and_saveexec_b64 s[28:29], vcc
	s_cbranch_execz .LBB4_288
; %bb.277:                              ;   in Loop: Header=BB4_274 Depth=3
	v_and_b32_e32 v4, 8, v62
	v_add_co_u32_e32 v14, vcc, v50, v4
	v_addc_co_u32_e32 v15, vcc, 0, v51, vcc
	v_add_co_u32_e32 v12, vcc, 2, v32
	v_addc_co_u32_e32 v13, vcc, 0, v33, vcc
	v_cmp_lt_u64_e32 vcc, v[14:15], v[12:13]
	v_mov_b32_e32 v3, 1
	s_and_saveexec_b64 s[38:39], vcc
	s_cbranch_execz .LBB4_287
; %bb.278:                              ;   in Loop: Header=BB4_274 Depth=3
	s_mov_b64 s[40:41], 0
	v_mov_b32_e32 v3, 0
                                        ; implicit-def: $sgpr42_sgpr43
	s_branch .LBB4_282
.LBB4_279:                              ;   in Loop: Header=BB4_282 Depth=4
	s_or_b64 exec, exec, s[64:65]
	v_mov_b32_e32 v5, 0
	s_orn2_b64 s[62:63], s[62:63], exec
.LBB4_280:                              ;   in Loop: Header=BB4_282 Depth=4
	s_or_b64 exec, exec, s[60:61]
	s_andn2_b64 vcc, s[42:43], exec
	s_and_b64 s[42:43], s[62:63], exec
	s_or_b64 s[42:43], vcc, s[42:43]
	v_mov_b32_e32 v3, v5
.LBB4_281:                              ;   in Loop: Header=BB4_282 Depth=4
	s_or_b64 exec, exec, s[44:45]
	s_waitcnt vmcnt(0) lgkmcnt(0)
	v_add_co_u32_e32 v14, vcc, v50, v4
	v_addc_co_u32_e32 v15, vcc, 0, v51, vcc
	v_cmp_ge_u64_e32 vcc, v[14:15], v[12:13]
	s_xor_b64 s[44:45], s[42:43], -1
	s_or_b64 vcc, s[44:45], vcc
	s_and_b64 vcc, exec, vcc
	s_or_b64 s[40:41], vcc, s[40:41]
	s_andn2_b64 exec, exec, s[40:41]
	s_cbranch_execz .LBB4_286
.LBB4_282:                              ;   Parent Loop BB4_47 Depth=1
                                        ;     Parent Loop BB4_271 Depth=2
                                        ;       Parent Loop BB4_274 Depth=3
                                        ; =>      This Inner Loop Header: Depth=4
	s_sleep 1
	flat_load_dwordx2 v[50:51], v[34:35] glc
	v_and_b32_e32 v5, 64, v62
	v_cmp_eq_u32_e32 vcc, 0, v5
	s_andn2_b64 s[42:43], s[42:43], exec
	s_and_saveexec_b64 s[44:45], vcc
	s_cbranch_execz .LBB4_281
; %bb.283:                              ;   in Loop: Header=BB4_282 Depth=4
	v_add_u32_e32 v5, 1, v3
	v_cmp_lt_i32_e32 vcc, s83, v3
	s_mov_b64 s[62:63], -1
	s_and_saveexec_b64 s[60:61], vcc
	s_cbranch_execz .LBB4_280
; %bb.284:                              ;   in Loop: Header=BB4_282 Depth=4
	s_trap 2
	ds_read_b64 v[14:15], v0
	s_waitcnt vmcnt(0) lgkmcnt(0)
	flat_load_dword v3, v[14:15] glc
	s_waitcnt vmcnt(0) lgkmcnt(0)
	buffer_invl2
	buffer_wbinvl1_vol
	v_cmp_ne_u32_e32 vcc, 0, v3
	s_and_saveexec_b64 s[64:65], vcc
	s_cbranch_execz .LBB4_279
; %bb.285:                              ;   in Loop: Header=BB4_282 Depth=4
	v_or_b32_e32 v62, 64, v62
	s_xor_b64 s[62:63], exec, -1
	ds_write_b32 v0, v3
	s_trap 2
	s_branch .LBB4_279
.LBB4_286:                              ;   in Loop: Header=BB4_274 Depth=3
	s_or_b64 exec, exec, s[40:41]
	v_and_b32_e32 v3, 12, v62
.LBB4_287:                              ;   in Loop: Header=BB4_274 Depth=3
	s_or_b64 exec, exec, s[38:39]
	v_cmp_eq_u32_e32 vcc, 0, v3
	s_orn2_b64 s[38:39], vcc, exec
	;;#ASMSTART
	s_wakeup
	;;#ASMEND
.LBB4_288:                              ;   in Loop: Header=BB4_274 Depth=3
	s_or_b64 exec, exec, s[28:29]
	v_sub_u32_e32 v3, v18, v8
	s_xor_b64 s[28:29], s[38:39], -1
	v_min_i32_e32 v2, v2, v3
	s_and_saveexec_b64 s[38:39], s[28:29]
	s_cbranch_execz .LBB4_302
; %bb.289:                              ;   in Loop: Header=BB4_274 Depth=3
	v_and_b32_e32 v3, 0x108, v62
	v_cmp_ne_u32_e32 vcc, s84, v3
	v_and_b32_e32 v4, 7, v32
	s_and_saveexec_b64 s[28:29], vcc
	s_xor_b64 s[28:29], exec, s[28:29]
                                        ; implicit-def: $vgpr12_vgpr13
; %bb.290:                              ;   in Loop: Header=BB4_274 Depth=3
	v_mov_b32_e32 v13, v6
; %bb.291:                              ;   in Loop: Header=BB4_274 Depth=3
	s_andn2_saveexec_b64 s[28:29], s[28:29]
	s_cbranch_execz .LBB4_293
; %bb.292:                              ;   in Loop: Header=BB4_274 Depth=3
	v_ashrrev_i32_e32 v3, 31, v2
	v_mov_b32_e32 v13, v6
	v_mad_u64_u32 v[14:15], vcc, v4, 24, v[44:45]
	v_lshlrev_b64 v[16:17], 2, v[2:3]
	flat_store_dwordx2 v[14:15], v[16:17] offset:8
.LBB4_293:                              ;   in Loop: Header=BB4_274 Depth=3
	s_or_b64 exec, exec, s[28:29]
	v_and_b32_e32 v3, 0x100, v62
	v_cmp_ne_u32_e32 vcc, 0, v3
	s_mov_b64 s[28:29], -1
                                        ; implicit-def: $vgpr14_vgpr15
	s_and_saveexec_b64 s[40:41], vcc
	s_cbranch_execz .LBB4_297
; %bb.294:                              ;   in Loop: Header=BB4_274 Depth=3
	v_mad_u64_u32 v[16:17], s[28:29], v4, 24, v[44:45]
	v_mov_b32_e32 v12, v17
	v_mad_u64_u32 v[14:15], s[28:29], v13, 24, v[12:13]
	v_mov_b32_e32 v17, v14
	flat_load_dword v3, v[16:17]
                                        ; implicit-def: $vgpr14_vgpr15
	s_waitcnt vmcnt(0) lgkmcnt(0)
	v_cmp_ne_u32_e32 vcc, 1, v3
	v_cmp_eq_u32_e64 s[28:29], 1, v3
	s_and_saveexec_b64 s[42:43], s[28:29]
	s_cbranch_execz .LBB4_296
; %bb.295:                              ;   in Loop: Header=BB4_274 Depth=3
	flat_load_dword v14, v[16:17] offset:4 glc
	s_waitcnt vmcnt(0) lgkmcnt(0)
	v_ashrrev_i32_e32 v15, 31, v14
	v_lshrrev_b64 v[14:15], 2, v[14:15]
.LBB4_296:                              ;   in Loop: Header=BB4_274 Depth=3
	s_or_b64 exec, exec, s[42:43]
	s_orn2_b64 s[28:29], vcc, exec
.LBB4_297:                              ;   in Loop: Header=BB4_274 Depth=3
	s_or_b64 exec, exec, s[40:41]
	s_and_saveexec_b64 vcc, s[28:29]
; %bb.298:                              ;   in Loop: Header=BB4_274 Depth=3
	v_mul_lo_u32 v3, v13, v30
	v_mul_lo_u32 v5, v4, v47
	v_mad_u64_u32 v[14:15], s[28:29], v4, v30, 0
	v_add3_u32 v15, v15, v5, v3
; %bb.299:                              ;   in Loop: Header=BB4_274 Depth=3
	s_or_b64 exec, exec, vcc
	v_lshlrev_b64 v[4:5], 2, v[14:15]
	v_add_co_u32_e32 v4, vcc, v40, v4
	v_addc_co_u32_e32 v5, vcc, v41, v5, vcc
	v_and_b32_e32 v3, 0x2000, v62
	v_cmp_ne_u32_e32 vcc, 0, v3
	s_trap 2
	ds_write_b64 v0, v[4:5]
	s_and_saveexec_b64 s[28:29], vcc
	s_cbranch_execz .LBB4_301
; %bb.300:                              ;   in Loop: Header=BB4_274 Depth=3
	ds_read_b64 v[4:5], v0 offset:584
	s_waitcnt lgkmcnt(0)
	v_add_co_u32_e32 v4, vcc, 1, v4
	v_addc_co_u32_e32 v5, vcc, 0, v5, vcc
	ds_write_b64 v0, v[4:5] offset:584
.LBB4_301:                              ;   in Loop: Header=BB4_274 Depth=3
	s_or_b64 exec, exec, s[28:29]
	v_add_co_u32_e32 v32, vcc, 2, v32
	v_addc_co_u32_e32 v33, vcc, 0, v33, vcc
.LBB4_302:                              ;   in Loop: Header=BB4_274 Depth=3
	s_or_b64 exec, exec, s[38:39]
	s_and_saveexec_b64 s[28:29], s[10:11]
	s_cbranch_execz .LBB4_321
; %bb.303:                              ;   in Loop: Header=BB4_274 Depth=3
	s_and_saveexec_b64 vcc, s[52:53]
	s_xor_b64 s[38:39], exec, vcc
	s_cbranch_execz .LBB4_318
; %bb.304:                              ;   in Loop: Header=BB4_274 Depth=3
	s_and_saveexec_b64 s[40:41], s[16:17]
	s_cbranch_execz .LBB4_317
; %bb.305:                              ;   in Loop: Header=BB4_274 Depth=3
	s_mov_b64 s[44:45], exec
	v_mbcnt_lo_u32_b32 v3, s44, 0
	v_mbcnt_hi_u32_b32 v3, s45, v3
	v_cmp_eq_u32_e32 vcc, 0, v3
	s_waitcnt vmcnt(0) lgkmcnt(0)
	buffer_wbinvl1_vol
	s_and_saveexec_b64 s[42:43], vcc
	s_cbranch_execz .LBB4_307
; %bb.306:                              ;   in Loop: Header=BB4_274 Depth=3
	s_bcnt1_i32_b64 vcc_lo, s[44:45]
	v_mov_b32_e32 v4, vcc_lo
	v_mov_b32_e32 v5, v6
	ds_add_u64 v0, v[4:5]
	s_trap 2
.LBB4_307:                              ;   in Loop: Header=BB4_274 Depth=3
	s_or_b64 exec, exec, s[42:43]
	s_trap 2
	ds_read_b64 v[4:5], v0
	v_add_co_u32_e32 v48, vcc, v48, v36
	v_addc_co_u32_e32 v49, vcc, 0, v49, vcc
	s_waitcnt lgkmcnt(0)
	v_cmp_lt_u64_e32 vcc, v[4:5], v[48:49]
	s_and_saveexec_b64 s[42:43], vcc
	s_cbranch_execz .LBB4_316
; %bb.308:                              ;   in Loop: Header=BB4_274 Depth=3
	s_mov_b32 s70, 0
	s_mov_b64 s[44:45], 0
                                        ; implicit-def: $sgpr60_sgpr61
                                        ; implicit-def: $sgpr62_sgpr63
	s_branch .LBB4_310
.LBB4_309:                              ;   in Loop: Header=BB4_310 Depth=4
	s_or_b64 exec, exec, s[66:67]
	s_and_b64 vcc, exec, vcc
	s_or_b64 s[44:45], vcc, s[44:45]
	s_andn2_b64 vcc, s[60:61], exec
	s_and_b64 s[60:61], s[62:63], exec
	s_or_b64 s[60:61], vcc, s[60:61]
	s_andn2_b64 exec, exec, s[44:45]
	s_cbranch_execz .LBB4_314
.LBB4_310:                              ;   Parent Loop BB4_47 Depth=1
                                        ;     Parent Loop BB4_271 Depth=2
                                        ;       Parent Loop BB4_274 Depth=3
                                        ; =>      This Inner Loop Header: Depth=4
	s_add_i32 s70, s70, 1
	s_cmpk_lg_i32 s70, 0x2710
	s_cselect_b64 s[64:65], -1, 0
	s_and_b64 vcc, exec, s[64:65]
                                        ; implicit-def: $sgpr66_sgpr67
	s_cbranch_vccnz .LBB4_312
; %bb.311:                              ;   in Loop: Header=BB4_310 Depth=4
	s_trap 2
	ds_read_b64 v[4:5], v0
	s_andn2_b64 s[64:65], s[64:65], exec
	s_mov_b32 s70, 0
	s_mov_b64 s[66:67], -1
	s_waitcnt lgkmcnt(0)
	flat_load_dword v3, v[4:5] glc
	s_waitcnt vmcnt(0) lgkmcnt(0)
	buffer_invl2
	buffer_wbinvl1_vol
	v_cmp_eq_u32_e32 vcc, 0, v3
	s_and_b64 vcc, vcc, exec
	s_or_b64 s[64:65], s[64:65], vcc
.LBB4_312:                              ;   in Loop: Header=BB4_310 Depth=4
	s_andn2_b64 s[62:63], s[62:63], exec
	s_and_b64 s[66:67], s[66:67], exec
	s_mov_b64 vcc, -1
	s_or_b64 s[62:63], s[62:63], s[66:67]
	s_and_saveexec_b64 s[66:67], s[64:65]
	s_cbranch_execz .LBB4_309
; %bb.313:                              ;   in Loop: Header=BB4_310 Depth=4
	s_sleep 1
	s_trap 2
	ds_read_b64 v[4:5], v0
	s_andn2_b64 s[62:63], s[62:63], exec
	s_waitcnt lgkmcnt(0)
	v_cmp_ge_u64_e32 vcc, v[4:5], v[48:49]
	s_orn2_b64 vcc, vcc, exec
	s_branch .LBB4_309
.LBB4_314:                              ;   in Loop: Header=BB4_274 Depth=3
	s_or_b64 exec, exec, s[44:45]
	s_and_saveexec_b64 vcc, s[60:61]
	s_xor_b64 vcc, exec, vcc
	s_cbranch_execz .LBB4_316
; %bb.315:                              ;   in Loop: Header=BB4_274 Depth=3
	ds_write_b32 v0, v46
	s_trap 2
.LBB4_316:                              ;   in Loop: Header=BB4_274 Depth=3
	s_or_b64 exec, exec, s[42:43]
	;;#ASMSTART
	s_wakeup
	;;#ASMEND
.LBB4_317:                              ;   in Loop: Header=BB4_274 Depth=3
	s_or_b64 exec, exec, s[40:41]
.LBB4_318:                              ;   in Loop: Header=BB4_274 Depth=3
	s_andn2_saveexec_b64 vcc, s[38:39]
	s_cbranch_execz .LBB4_320
; %bb.319:                              ;   in Loop: Header=BB4_274 Depth=3
	s_waitcnt vmcnt(0) lgkmcnt(0)
	buffer_wbinvl1_vol
	s_barrier
.LBB4_320:                              ;   in Loop: Header=BB4_274 Depth=3
	s_or_b64 exec, exec, vcc
.LBB4_321:                              ;   in Loop: Header=BB4_274 Depth=3
	s_or_b64 exec, exec, s[28:29]
	s_trap 2
	ds_read_b32 v4, v0
	v_and_b32_e32 v3, 0x4000, v62
	v_cmp_ne_u32_e32 vcc, 0, v3
	s_xor_b64 s[28:29], s[6:7], -1
	s_and_b64 vcc, s[28:29], vcc
	s_and_saveexec_b64 s[28:29], vcc
	s_cbranch_execz .LBB4_340
; %bb.322:                              ;   in Loop: Header=BB4_274 Depth=3
	s_and_saveexec_b64 vcc, s[52:53]
	s_xor_b64 s[38:39], exec, vcc
	s_cbranch_execz .LBB4_337
; %bb.323:                              ;   in Loop: Header=BB4_274 Depth=3
	s_and_saveexec_b64 s[40:41], s[16:17]
	s_cbranch_execz .LBB4_336
; %bb.324:                              ;   in Loop: Header=BB4_274 Depth=3
	s_mov_b64 s[44:45], exec
	v_mbcnt_lo_u32_b32 v3, s44, 0
	v_mbcnt_hi_u32_b32 v3, s45, v3
	v_cmp_eq_u32_e32 vcc, 0, v3
	s_waitcnt vmcnt(0) lgkmcnt(0)
	buffer_wbinvl1_vol
	s_and_saveexec_b64 s[42:43], vcc
	s_cbranch_execz .LBB4_326
; %bb.325:                              ;   in Loop: Header=BB4_274 Depth=3
	s_bcnt1_i32_b64 vcc_lo, s[44:45]
	v_mov_b32_e32 v12, vcc_lo
	v_mov_b32_e32 v13, v6
	ds_add_u64 v0, v[12:13]
	s_trap 2
.LBB4_326:                              ;   in Loop: Header=BB4_274 Depth=3
	s_or_b64 exec, exec, s[42:43]
	s_trap 2
	ds_read_b64 v[12:13], v0
	v_add_co_u32_e32 v48, vcc, v48, v36
	v_addc_co_u32_e32 v49, vcc, 0, v49, vcc
	s_waitcnt lgkmcnt(0)
	v_cmp_lt_u64_e32 vcc, v[12:13], v[48:49]
	s_and_saveexec_b64 s[42:43], vcc
	s_cbranch_execz .LBB4_335
; %bb.327:                              ;   in Loop: Header=BB4_274 Depth=3
	s_mov_b32 s70, 0
	s_mov_b64 s[44:45], 0
                                        ; implicit-def: $sgpr60_sgpr61
                                        ; implicit-def: $sgpr62_sgpr63
	s_branch .LBB4_329
.LBB4_328:                              ;   in Loop: Header=BB4_329 Depth=4
	s_or_b64 exec, exec, s[66:67]
	s_and_b64 vcc, exec, vcc
	s_or_b64 s[44:45], vcc, s[44:45]
	s_andn2_b64 vcc, s[60:61], exec
	s_and_b64 s[60:61], s[62:63], exec
	s_or_b64 s[60:61], vcc, s[60:61]
	s_andn2_b64 exec, exec, s[44:45]
	s_cbranch_execz .LBB4_333
.LBB4_329:                              ;   Parent Loop BB4_47 Depth=1
                                        ;     Parent Loop BB4_271 Depth=2
                                        ;       Parent Loop BB4_274 Depth=3
                                        ; =>      This Inner Loop Header: Depth=4
	s_add_i32 s70, s70, 1
	s_cmpk_lg_i32 s70, 0x2710
	s_cselect_b64 s[64:65], -1, 0
	s_and_b64 vcc, exec, s[64:65]
                                        ; implicit-def: $sgpr66_sgpr67
	s_cbranch_vccnz .LBB4_331
; %bb.330:                              ;   in Loop: Header=BB4_329 Depth=4
	s_trap 2
	ds_read_b64 v[12:13], v0
	s_andn2_b64 s[64:65], s[64:65], exec
	s_mov_b32 s70, 0
	s_mov_b64 s[66:67], -1
	s_waitcnt lgkmcnt(0)
	flat_load_dword v3, v[12:13] glc
	s_waitcnt vmcnt(0) lgkmcnt(0)
	buffer_invl2
	buffer_wbinvl1_vol
	v_cmp_eq_u32_e32 vcc, 0, v3
	s_and_b64 vcc, vcc, exec
	s_or_b64 s[64:65], s[64:65], vcc
.LBB4_331:                              ;   in Loop: Header=BB4_329 Depth=4
	s_andn2_b64 s[62:63], s[62:63], exec
	s_and_b64 s[66:67], s[66:67], exec
	s_mov_b64 vcc, -1
	s_or_b64 s[62:63], s[62:63], s[66:67]
	s_and_saveexec_b64 s[66:67], s[64:65]
	s_cbranch_execz .LBB4_328
; %bb.332:                              ;   in Loop: Header=BB4_329 Depth=4
	s_sleep 1
	s_trap 2
	ds_read_b64 v[12:13], v0
	s_andn2_b64 s[62:63], s[62:63], exec
	s_waitcnt lgkmcnt(0)
	v_cmp_ge_u64_e32 vcc, v[12:13], v[48:49]
	s_orn2_b64 vcc, vcc, exec
	s_branch .LBB4_328
.LBB4_333:                              ;   in Loop: Header=BB4_274 Depth=3
	s_or_b64 exec, exec, s[44:45]
	s_and_saveexec_b64 vcc, s[60:61]
	s_xor_b64 vcc, exec, vcc
	s_cbranch_execz .LBB4_335
; %bb.334:                              ;   in Loop: Header=BB4_274 Depth=3
	ds_write_b32 v0, v46
	s_trap 2
.LBB4_335:                              ;   in Loop: Header=BB4_274 Depth=3
	s_or_b64 exec, exec, s[42:43]
	;;#ASMSTART
	s_wakeup
	;;#ASMEND
.LBB4_336:                              ;   in Loop: Header=BB4_274 Depth=3
	s_or_b64 exec, exec, s[40:41]
.LBB4_337:                              ;   in Loop: Header=BB4_274 Depth=3
	s_andn2_saveexec_b64 vcc, s[38:39]
	s_cbranch_execz .LBB4_339
; %bb.338:                              ;   in Loop: Header=BB4_274 Depth=3
	s_waitcnt vmcnt(0) lgkmcnt(0)
	buffer_wbinvl1_vol
	s_barrier
.LBB4_339:                              ;   in Loop: Header=BB4_274 Depth=3
	s_or_b64 exec, exec, vcc
.LBB4_340:                              ;   in Loop: Header=BB4_274 Depth=3
	s_or_b64 exec, exec, s[28:29]
	s_trap 2
	ds_read_b64 v[12:13], v0
	v_mov_b32_e32 v3, 0
	s_waitcnt lgkmcnt(0)
	v_readfirstlane_b32 s28, v12
	v_readfirstlane_b32 s29, v13
	s_cmp_eq_u64 s[28:29], 0
	s_cselect_b64 s[28:29], -1, 0
	s_or_b64 s[28:29], s[28:29], s[28:29]
	s_and_b64 vcc, exec, s[28:29]
	s_cbranch_vccnz .LBB4_360
; %bb.341:                              ;   in Loop: Header=BB4_274 Depth=3
	s_mov_b64 s[28:29], -1
	s_and_saveexec_b64 s[38:39], s[22:23]
	s_cbranch_execz .LBB4_343
; %bb.342:                              ;   in Loop: Header=BB4_274 Depth=3
	ds_read_b32 v3, v0 offset:720
	s_waitcnt lgkmcnt(0)
	v_and_b32_e32 v3, 15, v3
	v_cmp_eq_u32_e32 vcc, 0, v3
	s_orn2_b64 s[28:29], vcc, exec
.LBB4_343:                              ;   in Loop: Header=BB4_274 Depth=3
	s_or_b64 exec, exec, s[38:39]
	s_and_saveexec_b64 s[38:39], s[20:21]
	s_cbranch_execz .LBB4_345
; %bb.344:                              ;   in Loop: Header=BB4_274 Depth=3
	ds_read_b32 v3, v0 offset:784
	s_waitcnt lgkmcnt(0)
	v_and_b32_e32 v3, 15, v3
	v_cmp_eq_u32_e32 vcc, 0, v3
	s_and_b64 vcc, s[28:29], vcc
	s_andn2_b64 s[28:29], s[28:29], exec
	s_and_b64 vcc, vcc, exec
	s_or_b64 s[28:29], s[28:29], vcc
.LBB4_345:                              ;   in Loop: Header=BB4_274 Depth=3
	s_or_b64 exec, exec, s[38:39]
	v_cmp_eq_u32_e32 vcc, 0, v4
	s_xor_b64 s[28:29], s[28:29], -1
	v_cndmask_b32_e32 v3, 0, v2, vcc
	v_cndmask_b32_e64 v4, 0, 1, s[28:29]
	v_mov_b32_e32 v16, 0
	v_lshlrev_b32_e32 v9, 2, v3
	s_mov_b64 s[40:41], -1
	;;#ASMSTART
	;;#ASMEND
	v_cmp_ne_u32_e32 vcc, 0, v4
	s_cbranch_vccz .LBB4_361
; %bb.346:                              ;   in Loop: Header=BB4_274 Depth=3
	v_mov_b32_e32 v17, v60
	v_mov_b32_e32 v4, v0
	s_and_saveexec_b64 s[28:29], s[40:41]
	s_cbranch_execz .LBB4_374
.LBB4_347:                              ;   in Loop: Header=BB4_274 Depth=3
	v_ashrrev_i32_e32 v5, 31, v9
	v_lshrrev_b32_e32 v5, 23, v5
	v_add_u32_e32 v5, v9, v5
	v_ashrrev_i32_e32 v21, 9, v5
	v_sub_u32_e32 v19, v21, v4
	v_ashrrev_i32_e32 v5, 31, v17
	v_cmp_lt_i32_e32 vcc, 0, v19
	v_lshrrev_b32_e32 v20, 26, v5
	s_and_saveexec_b64 s[38:39], vcc
	s_cbranch_execz .LBB4_351
; %bb.348:                              ;   in Loop: Header=BB4_274 Depth=3
	s_trap 2
	v_add_u32_e32 v5, v17, v20
	ds_read_b128 v[12:15], v0
	ds_read_b64 v[22:23], v0
	v_and_b32_e32 v5, 0x3fffffc0, v5
	v_sub_u32_e32 v5, v17, v5
	v_lshlrev_b32_e32 v5, 2, v5
	v_lshlrev_b32_e32 v4, 9, v4
	v_add3_u32 v7, v5, v16, v4
	v_ashrrev_i32_e32 v24, 31, v7
	s_waitcnt lgkmcnt(0)
	v_add_co_u32_e32 v4, vcc, v12, v7
	v_addc_co_u32_e32 v5, vcc, v13, v24, vcc
	v_add_co_u32_e32 v12, vcc, v14, v7
	v_addc_co_u32_e32 v13, vcc, v15, v24, vcc
	;; [unrolled: 2-line block ×3, first 2 shown]
	s_mov_b64 s[40:41], 0
.LBB4_349:                              ;   Parent Loop BB4_47 Depth=1
                                        ;     Parent Loop BB4_271 Depth=2
                                        ;       Parent Loop BB4_274 Depth=3
                                        ; =>      This Inner Loop Header: Depth=4
	flat_load_dword v7, v[4:5] glc slc
	flat_load_dword v22, v[4:5] offset:256 glc slc
	flat_load_dword v23, v[12:13] glc slc
	flat_load_dword v24, v[12:13] offset:256 glc slc
	v_add_co_u32_e32 v4, vcc, v4, v26
	v_addc_co_u32_e32 v5, vcc, v5, v27, vcc
	v_add_co_u32_e32 v12, vcc, v12, v26
	v_addc_co_u32_e32 v13, vcc, v13, v27, vcc
	v_sub_u32_e32 v19, v19, v36
	v_cmp_gt_i32_e32 vcc, 1, v19
	s_or_b64 s[40:41], vcc, s[40:41]
	s_waitcnt vmcnt(0) lgkmcnt(0)
	v_add_u32_e32 v7, v23, v7
	v_add_u32_e32 v22, v24, v22
	flat_store_dword v[14:15], v7 glc slc
	flat_store_dword v[14:15], v22 offset:256 glc slc
	v_add_co_u32_e32 v14, vcc, v14, v26
	v_addc_co_u32_e32 v15, vcc, v15, v27, vcc
	s_andn2_b64 exec, exec, s[40:41]
	s_cbranch_execnz .LBB4_349
; %bb.350:                              ;   in Loop: Header=BB4_274 Depth=3
	s_or_b64 exec, exec, s[40:41]
.LBB4_351:                              ;   in Loop: Header=BB4_274 Depth=3
	s_or_b64 exec, exec, s[38:39]
	v_lshlrev_b32_e32 v4, 9, v21
	v_cmp_ne_u32_e32 vcc, v9, v4
	s_and_saveexec_b64 s[38:39], vcc
	s_cbranch_execz .LBB4_355
; %bb.352:                              ;   in Loop: Header=BB4_274 Depth=3
	v_add_u32_e32 v5, v17, v20
	v_and_b32_e32 v5, 0xffffffc0, v5
	v_sub_u32_e32 v5, v17, v5
	v_lshlrev_b32_e32 v7, 6, v19
	v_sub_u32_e32 v5, v5, v7
	v_ashrrev_i32_e32 v7, 31, v5
	v_lshrrev_b32_e32 v7, 26, v7
	v_add_u32_e32 v7, v5, v7
	v_and_b32_e32 v12, 0x3fffffc0, v7
	v_sub_u32_e32 v5, v5, v12
	v_lshlrev_b32_e32 v7, 2, v7
	v_and_b32_e32 v7, 0xffffff00, v7
	v_lshlrev_b32_e32 v5, 2, v5
	v_add3_u32 v4, v7, v5, v4
	v_sub_u32_e32 v9, v9, v4
	v_cmp_lt_i32_e32 vcc, 3, v9
	s_and_b64 exec, exec, vcc
	s_cbranch_execz .LBB4_355
; %bb.353:                              ;   in Loop: Header=BB4_274 Depth=3
	s_trap 2
	ds_read_b128 v[12:15], v0
	v_add_u32_e32 v7, v4, v16
	ds_read_b64 v[16:17], v0
	v_ashrrev_i32_e32 v19, 31, v7
	s_mov_b64 s[40:41], 0
	s_waitcnt lgkmcnt(0)
	v_add_co_u32_e32 v4, vcc, v12, v7
	v_addc_co_u32_e32 v5, vcc, v13, v19, vcc
	v_add_co_u32_e32 v12, vcc, v14, v7
	v_addc_co_u32_e32 v13, vcc, v15, v19, vcc
	;; [unrolled: 2-line block ×3, first 2 shown]
.LBB4_354:                              ;   Parent Loop BB4_47 Depth=1
                                        ;     Parent Loop BB4_271 Depth=2
                                        ;       Parent Loop BB4_274 Depth=3
                                        ; =>      This Inner Loop Header: Depth=4
	flat_load_dword v7, v[4:5] glc slc
	flat_load_dword v16, v[12:13] glc slc
	v_add_co_u32_e32 v4, vcc, v4, v42
	v_addc_co_u32_e32 v5, vcc, v5, v43, vcc
	v_add_co_u32_e32 v12, vcc, v12, v42
	v_addc_co_u32_e32 v13, vcc, v13, v43, vcc
	v_sub_u32_e32 v9, v9, v37
	v_cmp_gt_i32_e32 vcc, 4, v9
	s_or_b64 s[40:41], vcc, s[40:41]
	s_waitcnt vmcnt(0) lgkmcnt(0)
	v_add_u32_e32 v7, v16, v7
	flat_store_dword v[14:15], v7 glc slc
	v_add_co_u32_e32 v14, vcc, v14, v42
	v_addc_co_u32_e32 v15, vcc, v15, v43, vcc
	s_andn2_b64 exec, exec, s[40:41]
	s_cbranch_execnz .LBB4_354
.LBB4_355:                              ;   in Loop: Header=BB4_274 Depth=3
	s_or_b64 exec, exec, s[38:39]
	s_or_b64 exec, exec, s[28:29]
	s_and_saveexec_b64 s[28:29], s[10:11]
	s_cbranch_execnz .LBB4_375
.LBB4_356:                              ;   in Loop: Header=BB4_274 Depth=3
	s_or_b64 exec, exec, s[28:29]
                                        ; implicit-def: $vgpr4
	s_and_saveexec_b64 s[28:29], s[24:25]
	s_xor_b64 s[38:39], exec, s[28:29]
	s_cbranch_execz .LBB4_393
.LBB4_357:                              ;   in Loop: Header=BB4_274 Depth=3
	v_cmp_lt_i32_e32 vcc, 0, v3
	v_and_b32_e32 v3, 16, v62
	v_cmp_ne_u32_e64 s[28:29], 0, v3
	v_and_b32_e32 v4, 16, v62
	s_and_b64 vcc, s[28:29], vcc
	s_and_saveexec_b64 s[28:29], vcc
	s_cbranch_execz .LBB4_359
; %bb.358:                              ;   in Loop: Header=BB4_274 Depth=3
	v_mov_b32_e32 v4, 1
	s_waitcnt vmcnt(0) lgkmcnt(0)
	buffer_wbinvl1_vol
.LBB4_359:                              ;   in Loop: Header=BB4_274 Depth=3
	s_or_b64 exec, exec, s[28:29]
	s_andn2_saveexec_b64 s[28:29], s[38:39]
	s_cbranch_execz .LBB4_412
	s_branch .LBB4_394
.LBB4_360:                              ;   in Loop: Header=BB4_274 Depth=3
	s_and_saveexec_b64 s[28:29], s[10:11]
	s_cbranch_execnz .LBB4_375
	s_branch .LBB4_356
.LBB4_361:                              ;   in Loop: Header=BB4_274 Depth=3
	v_ashrrev_i32_e32 v4, 31, v9
	v_lshrrev_b32_e32 v4, 21, v4
	v_add_u32_e32 v4, v9, v4
	v_ashrrev_i32_e32 v16, 11, v4
	v_sub_u32_e32 v20, v16, v0
	v_cmp_lt_i32_e32 vcc, 0, v20
	s_and_saveexec_b64 s[28:29], vcc
	s_cbranch_execz .LBB4_365
; %bb.362:                              ;   in Loop: Header=BB4_274 Depth=3
	s_trap 2
	ds_read_b128 v[12:15], v0
	ds_read_b64 v[22:23], v0
	v_accvgpr_read_b32 v24, a26
	v_accvgpr_read_b32 v25, a27
	v_mov_b32_e32 v17, v47
	s_waitcnt lgkmcnt(0)
	v_add_co_u32_e32 v4, vcc, v12, v24
	v_addc_co_u32_e32 v5, vcc, v13, v25, vcc
	v_add_co_u32_e32 v12, vcc, v14, v24
	v_addc_co_u32_e32 v13, vcc, v15, v25, vcc
	;; [unrolled: 2-line block ×3, first 2 shown]
	s_mov_b64 s[38:39], 0
.LBB4_363:                              ;   Parent Loop BB4_47 Depth=1
                                        ;     Parent Loop BB4_271 Depth=2
                                        ;       Parent Loop BB4_274 Depth=3
                                        ; =>      This Inner Loop Header: Depth=4
	global_load_dwordx4 v[22:25], v[12:13], off glc slc
	global_load_dwordx4 v[38:41], v[4:5], off glc slc
	global_load_dwordx4 v[44:47], v[4:5], off offset:1024 glc slc
	global_load_dwordx4 v[52:55], v[12:13], off offset:1024 glc slc
	v_add_co_u32_e32 v4, vcc, v4, v58
	v_addc_co_u32_e32 v5, vcc, v5, v59, vcc
	v_add_co_u32_e32 v12, vcc, v12, v58
	v_addc_co_u32_e32 v13, vcc, v13, v59, vcc
	v_sub_u32_e32 v20, v20, v36
	v_cmp_gt_i32_e32 vcc, 1, v20
	s_or_b64 s[38:39], vcc, s[38:39]
	s_waitcnt vmcnt(0)
	v_add_co_u32_e32 v7, vcc, 0, v38
	v_addc_co_u32_e32 v23, vcc, v23, v39, vcc
	v_add_co_u32_e32 v7, vcc, 0, v40
	v_addc_co_u32_e32 v25, vcc, v25, v41, vcc
	;; [unrolled: 2-line block ×3, first 2 shown]
	v_add_co_u32_e32 v7, vcc, 0, v46
	v_add_u32_e32 v22, v22, v38
	v_add_u32_e32 v24, v24, v40
	v_addc_co_u32_e32 v55, vcc, v55, v47, vcc
	v_add_u32_e32 v52, v52, v44
	v_add_u32_e32 v54, v54, v46
	global_store_dwordx4 v[14:15], v[22:25], off glc slc
	global_store_dwordx4 v[14:15], v[52:55], off offset:1024 glc slc
	v_add_co_u32_e32 v14, vcc, v14, v58
	v_addc_co_u32_e32 v15, vcc, v15, v59, vcc
	s_andn2_b64 exec, exec, s[38:39]
	s_cbranch_execnz .LBB4_363
; %bb.364:                              ;   in Loop: Header=BB4_274 Depth=3
	s_or_b64 exec, exec, s[38:39]
	v_accvgpr_read_b32 v45, a13
	v_accvgpr_read_b32 v41, a15
	;; [unrolled: 1-line block ×6, first 2 shown]
	v_mov_b32_e32 v47, v17
	v_accvgpr_read_b32 v54, a22
	v_accvgpr_read_b32 v53, a21
	v_mov_b32_e32 v46, 1
.LBB4_365:                              ;   in Loop: Header=BB4_274 Depth=3
	s_or_b64 exec, exec, s[28:29]
	v_lshlrev_b32_e32 v19, 11, v16
	v_cmp_ne_u32_e32 vcc, v9, v19
	s_mov_b64 s[40:41], 0
	v_mov_b32_e32 v16, 0
                                        ; implicit-def: $vgpr17
                                        ; implicit-def: $vgpr4
	s_and_saveexec_b64 s[38:39], vcc
	s_cbranch_execz .LBB4_373
; %bb.366:                              ;   in Loop: Header=BB4_274 Depth=3
	v_lshlrev_b32_e32 v4, 6, v20
	v_sub_u32_e32 v4, v57, v4
	v_ashrrev_i32_e32 v7, 31, v4
	v_lshrrev_b32_e32 v7, 26, v7
	v_add_u32_e32 v7, v4, v7
	v_sub_u32_e32 v5, v9, v19
	v_ashrrev_i32_e32 v12, 6, v7
	v_and_b32_e32 v7, 0xffffffc0, v7
	v_sub_u32_e32 v20, v4, v7
	v_ashrrev_i32_e32 v7, 31, v5
	v_lshrrev_b32_e32 v7, 22, v7
	v_add_u32_e32 v7, v5, v7
	v_and_b32_e32 v21, 0xfffffc00, v7
	v_lshlrev_b32_e32 v4, 4, v20
	v_sub_u32_e32 v23, v5, v21
	v_lshl_add_u32 v4, v12, 10, v4
	v_ashrrev_i32_e32 v13, 10, v7
	v_cmp_lt_i32_e32 vcc, 15, v23
	v_sub_u32_e32 v16, v5, v4
	v_addc_co_u32_e64 v5, s[28:29], 0, v13, vcc
	v_sub_u32_e32 v22, v5, v12
	v_cmp_lt_i32_e64 s[28:29], 15, v16
	s_and_saveexec_b64 s[40:41], s[28:29]
	s_cbranch_execz .LBB4_370
; %bb.367:                              ;   in Loop: Header=BB4_274 Depth=3
	s_trap 2
	ds_read_b128 v[12:15], v0
	ds_read_b64 v[24:25], v0
	v_add_u32_e32 v7, v4, v19
	v_ashrrev_i32_e32 v17, 31, v7
	s_mov_b64 s[42:43], 0
	s_waitcnt lgkmcnt(0)
	v_add_co_u32_e64 v4, s[28:29], v12, v7
	v_addc_co_u32_e64 v5, s[28:29], v13, v17, s[28:29]
	v_add_co_u32_e64 v12, s[28:29], v14, v7
	v_addc_co_u32_e64 v13, s[28:29], v15, v17, s[28:29]
	;; [unrolled: 2-line block ×3, first 2 shown]
.LBB4_368:                              ;   Parent Loop BB4_47 Depth=1
                                        ;     Parent Loop BB4_271 Depth=2
                                        ;       Parent Loop BB4_274 Depth=3
                                        ; =>      This Inner Loop Header: Depth=4
	global_load_dwordx4 v[52:55], v[4:5], off glc slc
	global_load_dwordx4 v[38:41], v[12:13], off glc slc
	v_add_co_u32_e64 v4, s[28:29], v4, v31
	v_addc_co_u32_e64 v5, s[28:29], v5, v1, s[28:29]
	v_add_co_u32_e64 v12, s[28:29], v12, v31
	v_addc_co_u32_e64 v13, s[28:29], v13, v1, s[28:29]
	v_sub_u32_e32 v16, v16, v61
	v_cmp_gt_i32_e64 s[28:29], 16, v16
	s_or_b64 s[42:43], s[28:29], s[42:43]
	v_sub_u32_e32 v22, v22, v36
	s_waitcnt vmcnt(0)
	v_add_co_u32_e64 v7, s[28:29], 0, v52
	v_addc_co_u32_e64 v39, s[28:29], v39, v53, s[28:29]
	v_add_co_u32_e64 v7, s[28:29], 0, v54
	v_add_u32_e32 v38, v38, v52
	v_add_u32_e32 v40, v40, v54
	v_addc_co_u32_e64 v41, s[28:29], v41, v55, s[28:29]
	global_store_dwordx4 v[14:15], v[38:41], off glc slc
	v_add_co_u32_e64 v14, s[28:29], v14, v31
	v_addc_co_u32_e64 v15, s[28:29], v15, v1, s[28:29]
	s_andn2_b64 exec, exec, s[42:43]
	s_cbranch_execnz .LBB4_368
; %bb.369:                              ;   in Loop: Header=BB4_274 Depth=3
	s_or_b64 exec, exec, s[42:43]
	v_accvgpr_read_b32 v41, a15
	v_accvgpr_read_b32 v39, a17
	;; [unrolled: 1-line block ×6, first 2 shown]
.LBB4_370:                              ;   in Loop: Header=BB4_274 Depth=3
	s_or_b64 exec, exec, s[40:41]
	v_and_b32_e32 v5, 12, v9
	v_cndmask_b32_e32 v9, v23, v5, vcc
	v_cmp_ne_u32_e64 s[28:29], 0, v9
	s_mov_b64 s[40:41], 0
	v_mov_b32_e32 v16, 0
                                        ; implicit-def: $vgpr17
                                        ; implicit-def: $vgpr4
	s_and_saveexec_b64 s[42:43], s[28:29]
	s_cbranch_execz .LBB4_372
; %bb.371:                              ;   in Loop: Header=BB4_274 Depth=3
	v_sub_u32_e32 v4, v23, v5
	v_cndmask_b32_e32 v4, 0, v4, vcc
	v_cmp_lt_i32_e32 vcc, 0, v22
	v_add3_u32 v16, v21, v19, v4
	v_cndmask_b32_e32 v4, 0, v36, vcc
	v_sub_u32_e32 v4, v4, v22
	v_lshl_add_u32 v17, v4, 6, v20
	v_ashrrev_i32_e32 v4, 31, v17
	v_lshrrev_b32_e32 v4, 26, v4
	v_add_u32_e32 v4, v17, v4
	s_mov_b64 s[40:41], exec
	v_ashrrev_i32_e32 v4, 6, v4
.LBB4_372:                              ;   in Loop: Header=BB4_274 Depth=3
	s_or_b64 exec, exec, s[42:43]
	s_and_b64 s[40:41], s[40:41], exec
.LBB4_373:                              ;   in Loop: Header=BB4_274 Depth=3
	s_or_b64 exec, exec, s[38:39]
	s_and_saveexec_b64 s[28:29], s[40:41]
	s_cbranch_execnz .LBB4_347
.LBB4_374:                              ;   in Loop: Header=BB4_274 Depth=3
	s_or_b64 exec, exec, s[28:29]
	s_and_saveexec_b64 s[28:29], s[10:11]
	s_cbranch_execz .LBB4_356
.LBB4_375:                              ;   in Loop: Header=BB4_274 Depth=3
	s_and_saveexec_b64 vcc, s[52:53]
	s_xor_b64 s[38:39], exec, vcc
	s_cbranch_execz .LBB4_390
; %bb.376:                              ;   in Loop: Header=BB4_274 Depth=3
	s_and_saveexec_b64 s[40:41], s[16:17]
	s_cbranch_execz .LBB4_389
; %bb.377:                              ;   in Loop: Header=BB4_274 Depth=3
	s_mov_b64 s[44:45], exec
	v_mbcnt_lo_u32_b32 v4, s44, 0
	v_mbcnt_hi_u32_b32 v4, s45, v4
	v_cmp_eq_u32_e32 vcc, 0, v4
	s_waitcnt vmcnt(0) lgkmcnt(0)
	buffer_wbinvl1_vol
	s_and_saveexec_b64 s[42:43], vcc
	s_cbranch_execz .LBB4_379
; %bb.378:                              ;   in Loop: Header=BB4_274 Depth=3
	s_bcnt1_i32_b64 vcc_lo, s[44:45]
	v_mov_b32_e32 v4, vcc_lo
	v_mov_b32_e32 v5, v6
	ds_add_u64 v0, v[4:5]
	s_trap 2
.LBB4_379:                              ;   in Loop: Header=BB4_274 Depth=3
	s_or_b64 exec, exec, s[42:43]
	s_trap 2
	ds_read_b64 v[4:5], v0
	v_add_co_u32_e32 v48, vcc, v48, v36
	v_addc_co_u32_e32 v49, vcc, 0, v49, vcc
	s_waitcnt lgkmcnt(0)
	v_cmp_lt_u64_e32 vcc, v[4:5], v[48:49]
	s_and_saveexec_b64 s[42:43], vcc
	s_cbranch_execz .LBB4_388
; %bb.380:                              ;   in Loop: Header=BB4_274 Depth=3
	s_mov_b32 s70, 0
	s_mov_b64 s[44:45], 0
                                        ; implicit-def: $sgpr60_sgpr61
                                        ; implicit-def: $sgpr62_sgpr63
	s_branch .LBB4_382
.LBB4_381:                              ;   in Loop: Header=BB4_382 Depth=4
	s_or_b64 exec, exec, s[66:67]
	s_and_b64 vcc, exec, vcc
	s_or_b64 s[44:45], vcc, s[44:45]
	s_andn2_b64 vcc, s[60:61], exec
	s_and_b64 s[60:61], s[62:63], exec
	s_or_b64 s[60:61], vcc, s[60:61]
	s_andn2_b64 exec, exec, s[44:45]
	s_cbranch_execz .LBB4_386
.LBB4_382:                              ;   Parent Loop BB4_47 Depth=1
                                        ;     Parent Loop BB4_271 Depth=2
                                        ;       Parent Loop BB4_274 Depth=3
                                        ; =>      This Inner Loop Header: Depth=4
	s_add_i32 s70, s70, 1
	s_cmpk_lg_i32 s70, 0x2710
	s_cselect_b64 s[64:65], -1, 0
	s_and_b64 vcc, exec, s[64:65]
                                        ; implicit-def: $sgpr66_sgpr67
	s_cbranch_vccnz .LBB4_384
; %bb.383:                              ;   in Loop: Header=BB4_382 Depth=4
	s_trap 2
	ds_read_b64 v[4:5], v0
	s_andn2_b64 s[64:65], s[64:65], exec
	s_mov_b32 s70, 0
	s_mov_b64 s[66:67], -1
	s_waitcnt lgkmcnt(0)
	flat_load_dword v4, v[4:5] glc
	s_waitcnt vmcnt(0) lgkmcnt(0)
	buffer_invl2
	buffer_wbinvl1_vol
	v_cmp_eq_u32_e32 vcc, 0, v4
	s_and_b64 vcc, vcc, exec
	s_or_b64 s[64:65], s[64:65], vcc
.LBB4_384:                              ;   in Loop: Header=BB4_382 Depth=4
	s_andn2_b64 s[62:63], s[62:63], exec
	s_and_b64 s[66:67], s[66:67], exec
	s_mov_b64 vcc, -1
	s_or_b64 s[62:63], s[62:63], s[66:67]
	s_and_saveexec_b64 s[66:67], s[64:65]
	s_cbranch_execz .LBB4_381
; %bb.385:                              ;   in Loop: Header=BB4_382 Depth=4
	s_sleep 1
	s_trap 2
	ds_read_b64 v[4:5], v0
	s_andn2_b64 s[62:63], s[62:63], exec
	s_waitcnt lgkmcnt(0)
	v_cmp_ge_u64_e32 vcc, v[4:5], v[48:49]
	s_orn2_b64 vcc, vcc, exec
	s_branch .LBB4_381
.LBB4_386:                              ;   in Loop: Header=BB4_274 Depth=3
	s_or_b64 exec, exec, s[44:45]
	s_and_saveexec_b64 vcc, s[60:61]
	s_xor_b64 vcc, exec, vcc
	s_cbranch_execz .LBB4_388
; %bb.387:                              ;   in Loop: Header=BB4_274 Depth=3
	ds_write_b32 v0, v46
	s_trap 2
.LBB4_388:                              ;   in Loop: Header=BB4_274 Depth=3
	s_or_b64 exec, exec, s[42:43]
	;;#ASMSTART
	s_wakeup
	;;#ASMEND
.LBB4_389:                              ;   in Loop: Header=BB4_274 Depth=3
	s_or_b64 exec, exec, s[40:41]
.LBB4_390:                              ;   in Loop: Header=BB4_274 Depth=3
	s_andn2_saveexec_b64 vcc, s[38:39]
	s_cbranch_execz .LBB4_392
; %bb.391:                              ;   in Loop: Header=BB4_274 Depth=3
	s_waitcnt vmcnt(0) lgkmcnt(0)
	buffer_wbinvl1_vol
	s_barrier
.LBB4_392:                              ;   in Loop: Header=BB4_274 Depth=3
	s_or_b64 exec, exec, vcc
	s_or_b64 exec, exec, s[28:29]
                                        ; implicit-def: $vgpr4
	s_and_saveexec_b64 s[28:29], s[24:25]
	s_xor_b64 s[38:39], exec, s[28:29]
	s_cbranch_execnz .LBB4_357
.LBB4_393:                              ;   in Loop: Header=BB4_274 Depth=3
	s_andn2_saveexec_b64 s[28:29], s[38:39]
	s_cbranch_execz .LBB4_412
.LBB4_394:                              ;   in Loop: Header=BB4_274 Depth=3
	s_and_saveexec_b64 vcc, s[52:53]
	s_xor_b64 s[38:39], exec, vcc
	s_cbranch_execz .LBB4_409
; %bb.395:                              ;   in Loop: Header=BB4_274 Depth=3
	s_and_saveexec_b64 s[40:41], s[16:17]
	s_cbranch_execz .LBB4_408
; %bb.396:                              ;   in Loop: Header=BB4_274 Depth=3
	s_mov_b64 s[44:45], exec
	v_mbcnt_lo_u32_b32 v3, s44, 0
	v_mbcnt_hi_u32_b32 v3, s45, v3
	v_cmp_eq_u32_e32 vcc, 0, v3
	;;#ASMSTART
	s_waitcnt lgkmcnt(0) vmcnt(0)
	;;#ASMEND
	s_and_saveexec_b64 s[42:43], vcc
	s_cbranch_execz .LBB4_398
; %bb.397:                              ;   in Loop: Header=BB4_274 Depth=3
	s_bcnt1_i32_b64 vcc_lo, s[44:45]
	v_mov_b32_e32 v4, vcc_lo
	v_mov_b32_e32 v5, v6
	ds_add_u64 v0, v[4:5]
	s_trap 2
.LBB4_398:                              ;   in Loop: Header=BB4_274 Depth=3
	s_or_b64 exec, exec, s[42:43]
	s_trap 2
	ds_read_b64 v[4:5], v0
	v_add_co_u32_e32 v48, vcc, v48, v36
	v_addc_co_u32_e32 v49, vcc, 0, v49, vcc
	s_waitcnt lgkmcnt(0)
	v_cmp_lt_u64_e32 vcc, v[4:5], v[48:49]
	s_and_saveexec_b64 s[42:43], vcc
	s_cbranch_execz .LBB4_407
; %bb.399:                              ;   in Loop: Header=BB4_274 Depth=3
	s_mov_b32 s70, 0
	s_mov_b64 s[44:45], 0
                                        ; implicit-def: $sgpr60_sgpr61
                                        ; implicit-def: $sgpr62_sgpr63
	s_branch .LBB4_401
.LBB4_400:                              ;   in Loop: Header=BB4_401 Depth=4
	s_or_b64 exec, exec, s[66:67]
	s_and_b64 vcc, exec, vcc
	s_or_b64 s[44:45], vcc, s[44:45]
	s_andn2_b64 vcc, s[60:61], exec
	s_and_b64 s[60:61], s[62:63], exec
	s_or_b64 s[60:61], vcc, s[60:61]
	s_andn2_b64 exec, exec, s[44:45]
	s_cbranch_execz .LBB4_405
.LBB4_401:                              ;   Parent Loop BB4_47 Depth=1
                                        ;     Parent Loop BB4_271 Depth=2
                                        ;       Parent Loop BB4_274 Depth=3
                                        ; =>      This Inner Loop Header: Depth=4
	s_add_i32 s70, s70, 1
	s_cmpk_lg_i32 s70, 0x2710
	s_cselect_b64 s[64:65], -1, 0
	s_and_b64 vcc, exec, s[64:65]
                                        ; implicit-def: $sgpr66_sgpr67
	s_cbranch_vccnz .LBB4_403
; %bb.402:                              ;   in Loop: Header=BB4_401 Depth=4
	s_trap 2
	ds_read_b64 v[4:5], v0
	s_andn2_b64 s[64:65], s[64:65], exec
	s_mov_b32 s70, 0
	s_mov_b64 s[66:67], -1
	s_waitcnt vmcnt(0) lgkmcnt(0)
	flat_load_dword v3, v[4:5] glc
	s_waitcnt vmcnt(0) lgkmcnt(0)
	buffer_invl2
	buffer_wbinvl1_vol
	v_cmp_eq_u32_e32 vcc, 0, v3
	s_and_b64 vcc, vcc, exec
	s_or_b64 s[64:65], s[64:65], vcc
.LBB4_403:                              ;   in Loop: Header=BB4_401 Depth=4
	s_andn2_b64 s[62:63], s[62:63], exec
	s_and_b64 s[66:67], s[66:67], exec
	s_mov_b64 vcc, -1
	s_or_b64 s[62:63], s[62:63], s[66:67]
	s_and_saveexec_b64 s[66:67], s[64:65]
	s_cbranch_execz .LBB4_400
; %bb.404:                              ;   in Loop: Header=BB4_401 Depth=4
	s_sleep 1
	s_trap 2
	ds_read_b64 v[4:5], v0
	s_andn2_b64 s[62:63], s[62:63], exec
	s_waitcnt lgkmcnt(0)
	v_cmp_ge_u64_e32 vcc, v[4:5], v[48:49]
	s_orn2_b64 vcc, vcc, exec
	s_branch .LBB4_400
.LBB4_405:                              ;   in Loop: Header=BB4_274 Depth=3
	s_or_b64 exec, exec, s[44:45]
	s_and_saveexec_b64 vcc, s[60:61]
	s_xor_b64 vcc, exec, vcc
	s_cbranch_execz .LBB4_407
; %bb.406:                              ;   in Loop: Header=BB4_274 Depth=3
	ds_write_b32 v0, v46
	s_trap 2
.LBB4_407:                              ;   in Loop: Header=BB4_274 Depth=3
	s_or_b64 exec, exec, s[42:43]
	;;#ASMSTART
	s_wakeup
	;;#ASMEND
.LBB4_408:                              ;   in Loop: Header=BB4_274 Depth=3
	s_or_b64 exec, exec, s[40:41]
.LBB4_409:                              ;   in Loop: Header=BB4_274 Depth=3
	s_andn2_saveexec_b64 vcc, s[38:39]
	s_cbranch_execz .LBB4_411
; %bb.410:                              ;   in Loop: Header=BB4_274 Depth=3
	;;#ASMSTART
	s_waitcnt lgkmcnt(0) vmcnt(0)
	;;#ASMEND
	s_barrier
.LBB4_411:                              ;   in Loop: Header=BB4_274 Depth=3
	s_or_b64 exec, exec, vcc
	v_and_b32_e32 v4, 16, v62
.LBB4_412:                              ;   in Loop: Header=BB4_274 Depth=3
	s_or_b64 exec, exec, s[28:29]
	v_cmp_ne_u32_e32 vcc, 0, v4
	s_xor_b64 s[28:29], s[12:13], -1
	s_and_b64 vcc, vcc, s[28:29]
	s_and_saveexec_b64 s[28:29], vcc
	s_cbranch_execz .LBB4_414
; %bb.413:                              ;   in Loop: Header=BB4_274 Depth=3
	flat_store_dword v[38:39], v46
.LBB4_414:                              ;   in Loop: Header=BB4_274 Depth=3
	s_or_b64 exec, exec, s[28:29]
	v_and_b32_e32 v3, 48, v62
	v_cmp_ne_u32_e32 vcc, 0, v3
	s_and_saveexec_b64 s[28:29], vcc
	s_cbranch_execz .LBB4_273
; %bb.415:                              ;   in Loop: Header=BB4_274 Depth=3
	v_add_co_u32_e32 v32, vcc, 2, v32
	v_addc_co_u32_e32 v33, vcc, 0, v33, vcc
	flat_store_dwordx2 v[34:35], v[32:33]
	s_branch .LBB4_273
.LBB4_416:                              ;   in Loop: Header=BB4_271 Depth=2
	s_or_b64 exec, exec, s[30:31]
	v_cmp_gt_i32_e32 vcc, 2, v3
	s_and_saveexec_b64 s[30:31], vcc
	s_cbranch_execz .LBB4_270
	s_branch .LBB4_418
.LBB4_417:                              ;   in Loop: Header=BB4_271 Depth=2
	s_or_b64 exec, exec, s[34:35]
	s_or_b64 exec, exec, s[30:31]
	v_cmp_gt_i32_e32 vcc, 2, v3
	s_and_saveexec_b64 s[30:31], vcc
	s_cbranch_execz .LBB4_270
.LBB4_418:                              ;   in Loop: Header=BB4_271 Depth=2
	v_cmp_eq_u32_e64 s[28:29], 0, v3
	s_mov_b64 s[34:35], 0
	s_branch .LBB4_420
.LBB4_419:                              ;   in Loop: Header=BB4_420 Depth=3
	s_or_b64 exec, exec, s[28:29]
	v_add_u32_e32 v8, v2, v8
	s_mov_b64 s[28:29], 0
	s_andn2_b64 exec, exec, s[34:35]
	s_cbranch_execz .LBB4_269
.LBB4_420:                              ;   Parent Loop BB4_47 Depth=1
                                        ;     Parent Loop BB4_271 Depth=2
                                        ; =>    This Loop Header: Depth=3
                                        ;         Child Loop BB4_426 Depth 4
                                        ;         Child Loop BB4_466 Depth 4
	;; [unrolled: 1-line block ×3, first 2 shown]
	v_and_b32_e32 v3, 12, v62
	s_mov_b64 s[38:39], -1
	v_cmp_ne_u32_e32 vcc, 0, v3
	s_and_saveexec_b64 s[36:37], vcc
	s_cbranch_execz .LBB4_432
; %bb.421:                              ;   in Loop: Header=BB4_420 Depth=3
	v_and_b32_e32 v4, 8, v62
	v_add_co_u32_e32 v12, vcc, v50, v4
	v_addc_co_u32_e32 v13, vcc, 0, v51, vcc
	v_add_co_u32_e32 v10, vcc, 2, v32
	v_addc_co_u32_e32 v11, vcc, 0, v33, vcc
	v_cmp_lt_u64_e32 vcc, v[12:13], v[10:11]
	v_mov_b32_e32 v3, 1
	s_and_saveexec_b64 s[38:39], vcc
	s_cbranch_execz .LBB4_431
; %bb.422:                              ;   in Loop: Header=BB4_420 Depth=3
	s_mov_b64 s[40:41], 0
	v_mov_b32_e32 v3, 0
                                        ; implicit-def: $sgpr42_sgpr43
	s_branch .LBB4_426
.LBB4_423:                              ;   in Loop: Header=BB4_426 Depth=4
	s_or_b64 exec, exec, s[64:65]
	v_mov_b32_e32 v5, 0
	s_orn2_b64 s[62:63], s[62:63], exec
.LBB4_424:                              ;   in Loop: Header=BB4_426 Depth=4
	s_or_b64 exec, exec, s[60:61]
	s_andn2_b64 vcc, s[42:43], exec
	s_and_b64 s[42:43], s[62:63], exec
	s_or_b64 s[42:43], vcc, s[42:43]
	v_mov_b32_e32 v3, v5
.LBB4_425:                              ;   in Loop: Header=BB4_426 Depth=4
	s_or_b64 exec, exec, s[44:45]
	s_waitcnt vmcnt(0) lgkmcnt(0)
	v_add_co_u32_e32 v12, vcc, v50, v4
	v_addc_co_u32_e32 v13, vcc, 0, v51, vcc
	v_cmp_ge_u64_e32 vcc, v[12:13], v[10:11]
	s_xor_b64 s[44:45], s[42:43], -1
	s_or_b64 vcc, s[44:45], vcc
	s_and_b64 vcc, exec, vcc
	s_or_b64 s[40:41], vcc, s[40:41]
	s_andn2_b64 exec, exec, s[40:41]
	s_cbranch_execz .LBB4_430
.LBB4_426:                              ;   Parent Loop BB4_47 Depth=1
                                        ;     Parent Loop BB4_271 Depth=2
                                        ;       Parent Loop BB4_420 Depth=3
                                        ; =>      This Inner Loop Header: Depth=4
	s_sleep 1
	flat_load_dwordx2 v[50:51], v[34:35] glc
	v_and_b32_e32 v5, 64, v62
	v_cmp_eq_u32_e32 vcc, 0, v5
	s_andn2_b64 s[42:43], s[42:43], exec
	s_and_saveexec_b64 s[44:45], vcc
	s_cbranch_execz .LBB4_425
; %bb.427:                              ;   in Loop: Header=BB4_426 Depth=4
	v_add_u32_e32 v5, 1, v3
	v_cmp_lt_i32_e32 vcc, s83, v3
	s_mov_b64 s[62:63], -1
	s_and_saveexec_b64 s[60:61], vcc
	s_cbranch_execz .LBB4_424
; %bb.428:                              ;   in Loop: Header=BB4_426 Depth=4
	s_trap 2
	ds_read_b64 v[12:13], v0
	s_waitcnt vmcnt(0) lgkmcnt(0)
	flat_load_dword v3, v[12:13] glc
	s_waitcnt vmcnt(0) lgkmcnt(0)
	buffer_invl2
	buffer_wbinvl1_vol
	v_cmp_ne_u32_e32 vcc, 0, v3
	s_and_saveexec_b64 s[64:65], vcc
	s_cbranch_execz .LBB4_423
; %bb.429:                              ;   in Loop: Header=BB4_426 Depth=4
	v_or_b32_e32 v62, 64, v62
	s_xor_b64 s[62:63], exec, -1
	ds_write_b32 v0, v3
	s_trap 2
	s_branch .LBB4_423
.LBB4_430:                              ;   in Loop: Header=BB4_420 Depth=3
	s_or_b64 exec, exec, s[40:41]
	v_and_b32_e32 v3, 12, v62
.LBB4_431:                              ;   in Loop: Header=BB4_420 Depth=3
	s_or_b64 exec, exec, s[38:39]
	v_cmp_eq_u32_e32 vcc, 0, v3
	s_orn2_b64 s[38:39], vcc, exec
	;;#ASMSTART
	s_wakeup
	;;#ASMEND
.LBB4_432:                              ;   in Loop: Header=BB4_420 Depth=3
	s_or_b64 exec, exec, s[36:37]
	s_xor_b64 s[28:29], s[28:29], -1
	s_and_b64 s[28:29], exec, s[28:29]
	s_or_b64 s[34:35], s[28:29], s[34:35]
	v_sub_u32_e32 v3, v18, v8
	s_xor_b64 s[28:29], s[38:39], -1
	v_min_i32_e32 v2, v2, v3
	s_and_saveexec_b64 s[36:37], s[28:29]
	s_cbranch_execz .LBB4_458
; %bb.433:                              ;   in Loop: Header=BB4_420 Depth=3
	v_and_b32_e32 v3, 0x108, v62
	v_cmp_ne_u32_e32 vcc, s84, v3
	v_and_b32_e32 v4, 7, v32
	s_and_saveexec_b64 s[28:29], vcc
	s_xor_b64 s[28:29], exec, s[28:29]
                                        ; implicit-def: $vgpr10_vgpr11
; %bb.434:                              ;   in Loop: Header=BB4_420 Depth=3
	v_mov_b32_e32 v11, v6
; %bb.435:                              ;   in Loop: Header=BB4_420 Depth=3
	s_andn2_saveexec_b64 s[28:29], s[28:29]
	s_cbranch_execz .LBB4_437
; %bb.436:                              ;   in Loop: Header=BB4_420 Depth=3
	v_ashrrev_i32_e32 v3, 31, v2
	v_mov_b32_e32 v11, v6
	v_mad_u64_u32 v[12:13], vcc, v4, 24, v[44:45]
	v_lshlrev_b64 v[14:15], 2, v[2:3]
	flat_store_dwordx2 v[12:13], v[14:15] offset:8
.LBB4_437:                              ;   in Loop: Header=BB4_420 Depth=3
	s_or_b64 exec, exec, s[28:29]
	v_and_b32_e32 v3, 0x100, v62
	v_cmp_ne_u32_e32 vcc, 0, v3
	s_mov_b64 s[28:29], -1
                                        ; implicit-def: $vgpr12_vgpr13
	s_and_saveexec_b64 s[38:39], vcc
	s_cbranch_execz .LBB4_441
; %bb.438:                              ;   in Loop: Header=BB4_420 Depth=3
	v_mad_u64_u32 v[14:15], s[28:29], v4, 24, v[44:45]
	v_mov_b32_e32 v10, v15
	v_mad_u64_u32 v[12:13], s[28:29], v11, 24, v[10:11]
	v_mov_b32_e32 v15, v12
	flat_load_dword v3, v[14:15]
                                        ; implicit-def: $vgpr12_vgpr13
	s_waitcnt vmcnt(0) lgkmcnt(0)
	v_cmp_ne_u32_e32 vcc, 1, v3
	v_cmp_eq_u32_e64 s[28:29], 1, v3
	s_and_saveexec_b64 s[40:41], s[28:29]
	s_cbranch_execz .LBB4_440
; %bb.439:                              ;   in Loop: Header=BB4_420 Depth=3
	flat_load_dword v12, v[14:15] offset:4 glc
	s_waitcnt vmcnt(0) lgkmcnt(0)
	v_ashrrev_i32_e32 v13, 31, v12
	v_lshrrev_b64 v[12:13], 2, v[12:13]
.LBB4_440:                              ;   in Loop: Header=BB4_420 Depth=3
	s_or_b64 exec, exec, s[40:41]
	s_orn2_b64 s[28:29], vcc, exec
.LBB4_441:                              ;   in Loop: Header=BB4_420 Depth=3
	s_or_b64 exec, exec, s[38:39]
	s_and_saveexec_b64 vcc, s[28:29]
; %bb.442:                              ;   in Loop: Header=BB4_420 Depth=3
	v_mul_lo_u32 v3, v11, v30
	v_mul_lo_u32 v5, v4, v47
	v_mad_u64_u32 v[12:13], s[28:29], v4, v30, 0
	v_add3_u32 v13, v13, v5, v3
; %bb.443:                              ;   in Loop: Header=BB4_420 Depth=3
	s_or_b64 exec, exec, vcc
	v_lshlrev_b64 v[4:5], 2, v[12:13]
	v_add_co_u32_e32 v4, vcc, v40, v4
	v_addc_co_u32_e32 v5, vcc, v41, v5, vcc
	v_and_b32_e32 v3, 0x2000, v62
	v_cmp_ne_u32_e32 vcc, 0, v3
	s_trap 2
	ds_write_b64 v0, v[4:5]
	s_and_saveexec_b64 s[28:29], vcc
	s_cbranch_execz .LBB4_445
; %bb.444:                              ;   in Loop: Header=BB4_420 Depth=3
	ds_read_b64 v[4:5], v0 offset:584
	s_waitcnt lgkmcnt(0)
	v_add_co_u32_e32 v4, vcc, 1, v4
	v_addc_co_u32_e32 v5, vcc, 0, v5, vcc
	ds_write_b64 v0, v[4:5] offset:584
.LBB4_445:                              ;   in Loop: Header=BB4_420 Depth=3
	s_or_b64 exec, exec, s[28:29]
	v_add_co_u32_e32 v32, vcc, 2, v32
	v_addc_co_u32_e32 v33, vcc, 0, v33, vcc
	s_or_b64 exec, exec, s[36:37]
	s_and_saveexec_b64 s[28:29], s[10:11]
	s_cbranch_execnz .LBB4_459
.LBB4_446:                              ;   in Loop: Header=BB4_420 Depth=3
	s_or_b64 exec, exec, s[28:29]
                                        ; implicit-def: $vgpr3
	s_and_saveexec_b64 s[28:29], s[56:57]
	s_xor_b64 s[28:29], exec, s[28:29]
	s_cbranch_execz .LBB4_484
.LBB4_447:                              ;   in Loop: Header=BB4_420 Depth=3
	s_and_saveexec_b64 vcc, s[52:53]
	s_xor_b64 s[36:37], exec, vcc
	s_cbranch_execz .LBB4_474
; %bb.448:                              ;   in Loop: Header=BB4_420 Depth=3
	s_and_saveexec_b64 s[38:39], s[16:17]
	s_cbranch_execz .LBB4_473
; %bb.449:                              ;   in Loop: Header=BB4_420 Depth=3
	s_mov_b64 s[42:43], exec
	v_mbcnt_lo_u32_b32 v3, s42, 0
	v_mbcnt_hi_u32_b32 v3, s43, v3
	v_cmp_eq_u32_e32 vcc, 0, v3
	;;#ASMSTART
	s_waitcnt lgkmcnt(0) vmcnt(0)
	;;#ASMEND
	s_and_saveexec_b64 s[40:41], vcc
	s_cbranch_execz .LBB4_451
; %bb.450:                              ;   in Loop: Header=BB4_420 Depth=3
	s_bcnt1_i32_b64 vcc_lo, s[42:43]
	v_mov_b32_e32 v4, vcc_lo
	v_mov_b32_e32 v5, v6
	ds_add_u64 v0, v[4:5]
	s_trap 2
.LBB4_451:                              ;   in Loop: Header=BB4_420 Depth=3
	s_or_b64 exec, exec, s[40:41]
	s_trap 2
	ds_read_b64 v[4:5], v0
	v_add_co_u32_e32 v48, vcc, v48, v36
	v_addc_co_u32_e32 v49, vcc, 0, v49, vcc
	s_waitcnt lgkmcnt(0)
	v_cmp_lt_u64_e32 vcc, v[4:5], v[48:49]
	s_and_saveexec_b64 s[40:41], vcc
	s_cbranch_execz .LBB4_472
; %bb.452:                              ;   in Loop: Header=BB4_420 Depth=3
	s_mov_b32 s66, 0
	s_mov_b64 s[42:43], 0
                                        ; implicit-def: $sgpr44_sgpr45
                                        ; implicit-def: $sgpr60_sgpr61
	s_branch .LBB4_454
.LBB4_453:                              ;   in Loop: Header=BB4_454 Depth=4
	s_or_b64 exec, exec, s[64:65]
	s_and_b64 vcc, exec, vcc
	s_or_b64 s[42:43], vcc, s[42:43]
	s_andn2_b64 vcc, s[44:45], exec
	s_and_b64 s[44:45], s[60:61], exec
	s_or_b64 s[44:45], vcc, s[44:45]
	s_andn2_b64 exec, exec, s[42:43]
	s_cbranch_execz .LBB4_470
.LBB4_454:                              ;   Parent Loop BB4_47 Depth=1
                                        ;     Parent Loop BB4_271 Depth=2
                                        ;       Parent Loop BB4_420 Depth=3
                                        ; =>      This Inner Loop Header: Depth=4
	s_add_i32 s66, s66, 1
	s_cmpk_lg_i32 s66, 0x2710
	s_cselect_b64 s[62:63], -1, 0
	s_and_b64 vcc, exec, s[62:63]
                                        ; implicit-def: $sgpr64_sgpr65
	s_cbranch_vccnz .LBB4_456
; %bb.455:                              ;   in Loop: Header=BB4_454 Depth=4
	s_trap 2
	ds_read_b64 v[4:5], v0
	s_andn2_b64 s[62:63], s[62:63], exec
	s_mov_b32 s66, 0
	s_mov_b64 s[64:65], -1
	s_waitcnt vmcnt(0) lgkmcnt(0)
	flat_load_dword v3, v[4:5] glc
	s_waitcnt vmcnt(0) lgkmcnt(0)
	buffer_invl2
	buffer_wbinvl1_vol
	v_cmp_eq_u32_e32 vcc, 0, v3
	s_and_b64 vcc, vcc, exec
	s_or_b64 s[62:63], s[62:63], vcc
.LBB4_456:                              ;   in Loop: Header=BB4_454 Depth=4
	s_andn2_b64 s[60:61], s[60:61], exec
	s_and_b64 s[64:65], s[64:65], exec
	s_mov_b64 vcc, -1
	s_or_b64 s[60:61], s[60:61], s[64:65]
	s_and_saveexec_b64 s[64:65], s[62:63]
	s_cbranch_execz .LBB4_453
; %bb.457:                              ;   in Loop: Header=BB4_454 Depth=4
	s_sleep 1
	s_trap 2
	ds_read_b64 v[4:5], v0
	s_andn2_b64 s[60:61], s[60:61], exec
	s_waitcnt lgkmcnt(0)
	v_cmp_ge_u64_e32 vcc, v[4:5], v[48:49]
	s_orn2_b64 vcc, vcc, exec
	s_branch .LBB4_453
.LBB4_458:                              ;   in Loop: Header=BB4_420 Depth=3
	s_or_b64 exec, exec, s[36:37]
	s_and_saveexec_b64 s[28:29], s[10:11]
	s_cbranch_execz .LBB4_446
.LBB4_459:                              ;   in Loop: Header=BB4_420 Depth=3
	s_and_saveexec_b64 vcc, s[52:53]
	s_xor_b64 s[36:37], exec, vcc
	s_cbranch_execz .LBB4_481
; %bb.460:                              ;   in Loop: Header=BB4_420 Depth=3
	s_and_saveexec_b64 s[38:39], s[16:17]
	s_cbranch_execz .LBB4_480
; %bb.461:                              ;   in Loop: Header=BB4_420 Depth=3
	s_mov_b64 s[42:43], exec
	v_mbcnt_lo_u32_b32 v3, s42, 0
	v_mbcnt_hi_u32_b32 v3, s43, v3
	v_cmp_eq_u32_e32 vcc, 0, v3
	s_waitcnt vmcnt(0) lgkmcnt(0)
	buffer_wbinvl1_vol
	s_and_saveexec_b64 s[40:41], vcc
	s_cbranch_execz .LBB4_463
; %bb.462:                              ;   in Loop: Header=BB4_420 Depth=3
	s_bcnt1_i32_b64 vcc_lo, s[42:43]
	v_mov_b32_e32 v4, vcc_lo
	v_mov_b32_e32 v5, v6
	ds_add_u64 v0, v[4:5]
	s_trap 2
.LBB4_463:                              ;   in Loop: Header=BB4_420 Depth=3
	s_or_b64 exec, exec, s[40:41]
	s_trap 2
	ds_read_b64 v[4:5], v0
	v_add_co_u32_e32 v48, vcc, v48, v36
	v_addc_co_u32_e32 v49, vcc, 0, v49, vcc
	s_waitcnt lgkmcnt(0)
	v_cmp_lt_u64_e32 vcc, v[4:5], v[48:49]
	s_and_saveexec_b64 s[40:41], vcc
	s_cbranch_execz .LBB4_479
; %bb.464:                              ;   in Loop: Header=BB4_420 Depth=3
	s_mov_b32 s66, 0
	s_mov_b64 s[42:43], 0
                                        ; implicit-def: $sgpr44_sgpr45
                                        ; implicit-def: $sgpr60_sgpr61
	s_branch .LBB4_466
.LBB4_465:                              ;   in Loop: Header=BB4_466 Depth=4
	s_or_b64 exec, exec, s[64:65]
	s_and_b64 vcc, exec, vcc
	s_or_b64 s[42:43], vcc, s[42:43]
	s_andn2_b64 vcc, s[44:45], exec
	s_and_b64 s[44:45], s[60:61], exec
	s_or_b64 s[44:45], vcc, s[44:45]
	s_andn2_b64 exec, exec, s[42:43]
	s_cbranch_execz .LBB4_477
.LBB4_466:                              ;   Parent Loop BB4_47 Depth=1
                                        ;     Parent Loop BB4_271 Depth=2
                                        ;       Parent Loop BB4_420 Depth=3
                                        ; =>      This Inner Loop Header: Depth=4
	s_add_i32 s66, s66, 1
	s_cmpk_lg_i32 s66, 0x2710
	s_cselect_b64 s[62:63], -1, 0
	s_and_b64 vcc, exec, s[62:63]
                                        ; implicit-def: $sgpr64_sgpr65
	s_cbranch_vccnz .LBB4_468
; %bb.467:                              ;   in Loop: Header=BB4_466 Depth=4
	s_trap 2
	ds_read_b64 v[4:5], v0
	s_andn2_b64 s[62:63], s[62:63], exec
	s_mov_b32 s66, 0
	s_mov_b64 s[64:65], -1
	s_waitcnt lgkmcnt(0)
	flat_load_dword v3, v[4:5] glc
	s_waitcnt vmcnt(0) lgkmcnt(0)
	buffer_invl2
	buffer_wbinvl1_vol
	v_cmp_eq_u32_e32 vcc, 0, v3
	s_and_b64 vcc, vcc, exec
	s_or_b64 s[62:63], s[62:63], vcc
.LBB4_468:                              ;   in Loop: Header=BB4_466 Depth=4
	s_andn2_b64 s[60:61], s[60:61], exec
	s_and_b64 s[64:65], s[64:65], exec
	s_mov_b64 vcc, -1
	s_or_b64 s[60:61], s[60:61], s[64:65]
	s_and_saveexec_b64 s[64:65], s[62:63]
	s_cbranch_execz .LBB4_465
; %bb.469:                              ;   in Loop: Header=BB4_466 Depth=4
	s_sleep 1
	s_trap 2
	ds_read_b64 v[4:5], v0
	s_andn2_b64 s[60:61], s[60:61], exec
	s_waitcnt lgkmcnt(0)
	v_cmp_ge_u64_e32 vcc, v[4:5], v[48:49]
	s_orn2_b64 vcc, vcc, exec
	s_branch .LBB4_465
.LBB4_470:                              ;   in Loop: Header=BB4_420 Depth=3
	s_or_b64 exec, exec, s[42:43]
	s_and_saveexec_b64 vcc, s[44:45]
	s_xor_b64 vcc, exec, vcc
	s_cbranch_execz .LBB4_472
; %bb.471:                              ;   in Loop: Header=BB4_420 Depth=3
	ds_write_b32 v0, v46
	s_trap 2
.LBB4_472:                              ;   in Loop: Header=BB4_420 Depth=3
	s_or_b64 exec, exec, s[40:41]
	;;#ASMSTART
	s_wakeup
	;;#ASMEND
.LBB4_473:                              ;   in Loop: Header=BB4_420 Depth=3
	s_or_b64 exec, exec, s[38:39]
.LBB4_474:                              ;   in Loop: Header=BB4_420 Depth=3
	s_andn2_saveexec_b64 vcc, s[36:37]
	s_cbranch_execz .LBB4_476
; %bb.475:                              ;   in Loop: Header=BB4_420 Depth=3
	;;#ASMSTART
	s_waitcnt lgkmcnt(0) vmcnt(0)
	;;#ASMEND
	s_barrier
.LBB4_476:                              ;   in Loop: Header=BB4_420 Depth=3
	s_or_b64 exec, exec, vcc
	v_and_b32_e32 v3, 16, v62
	s_andn2_saveexec_b64 s[28:29], s[28:29]
	s_cbranch_execz .LBB4_488
	s_branch .LBB4_485
.LBB4_477:                              ;   in Loop: Header=BB4_420 Depth=3
	s_or_b64 exec, exec, s[42:43]
	s_and_saveexec_b64 vcc, s[44:45]
	s_xor_b64 vcc, exec, vcc
	s_cbranch_execz .LBB4_479
; %bb.478:                              ;   in Loop: Header=BB4_420 Depth=3
	ds_write_b32 v0, v46
	s_trap 2
.LBB4_479:                              ;   in Loop: Header=BB4_420 Depth=3
	s_or_b64 exec, exec, s[40:41]
	;;#ASMSTART
	s_wakeup
	;;#ASMEND
.LBB4_480:                              ;   in Loop: Header=BB4_420 Depth=3
	s_or_b64 exec, exec, s[38:39]
.LBB4_481:                              ;   in Loop: Header=BB4_420 Depth=3
	s_andn2_saveexec_b64 vcc, s[36:37]
	s_cbranch_execz .LBB4_483
; %bb.482:                              ;   in Loop: Header=BB4_420 Depth=3
	s_waitcnt vmcnt(0) lgkmcnt(0)
	buffer_wbinvl1_vol
	s_barrier
.LBB4_483:                              ;   in Loop: Header=BB4_420 Depth=3
	s_or_b64 exec, exec, vcc
	s_or_b64 exec, exec, s[28:29]
                                        ; implicit-def: $vgpr3
	s_and_saveexec_b64 s[28:29], s[56:57]
	s_xor_b64 s[28:29], exec, s[28:29]
	s_cbranch_execnz .LBB4_447
.LBB4_484:                              ;   in Loop: Header=BB4_420 Depth=3
	s_andn2_saveexec_b64 s[28:29], s[28:29]
	s_cbranch_execz .LBB4_488
.LBB4_485:                              ;   in Loop: Header=BB4_420 Depth=3
	s_trap 2
	ds_read_b32 v4, v0
	v_cmp_lt_i32_e32 vcc, 0, v2
	v_and_b32_e32 v5, 16, v62
	v_and_b32_e32 v3, 16, v62
	s_waitcnt lgkmcnt(0)
	v_readfirstlane_b32 s36, v4
	s_cmp_eq_u32 s36, 0
	s_cselect_b64 s[36:37], -1, 0
	s_and_b64 s[36:37], vcc, s[36:37]
	v_cmp_ne_u32_e32 vcc, 0, v5
	s_and_b64 s[36:37], vcc, s[36:37]
	s_and_saveexec_b64 vcc, s[36:37]
	s_cbranch_execz .LBB4_487
; %bb.486:                              ;   in Loop: Header=BB4_420 Depth=3
	v_mov_b32_e32 v3, 1
	s_waitcnt vmcnt(0)
	buffer_wbinvl1_vol
.LBB4_487:                              ;   in Loop: Header=BB4_420 Depth=3
	s_or_b64 exec, exec, vcc
.LBB4_488:                              ;   in Loop: Header=BB4_420 Depth=3
	s_or_b64 exec, exec, s[28:29]
	v_cmp_ne_u32_e32 vcc, 0, v3
	s_xor_b64 s[28:29], s[12:13], -1
	s_and_b64 vcc, vcc, s[28:29]
	s_and_saveexec_b64 s[28:29], vcc
	s_cbranch_execz .LBB4_490
; %bb.489:                              ;   in Loop: Header=BB4_420 Depth=3
	flat_store_dword v[38:39], v46
.LBB4_490:                              ;   in Loop: Header=BB4_420 Depth=3
	s_or_b64 exec, exec, s[28:29]
	v_and_b32_e32 v3, 48, v62
	v_cmp_ne_u32_e32 vcc, 0, v3
	s_and_saveexec_b64 s[28:29], vcc
	s_cbranch_execz .LBB4_419
; %bb.491:                              ;   in Loop: Header=BB4_420 Depth=3
	v_add_co_u32_e32 v32, vcc, 2, v32
	v_addc_co_u32_e32 v33, vcc, 0, v33, vcc
	flat_store_dwordx2 v[34:35], v[32:33]
	s_branch .LBB4_419
.LBB4_492:                              ;   in Loop: Header=BB4_47 Depth=1
	v_accvgpr_read_b32 v18, a18
	v_accvgpr_read_b32 v19, a19
.LBB4_493:                              ;   in Loop: Header=BB4_47 Depth=1
	v_accvgpr_read_b32 v8, a30
	v_accvgpr_read_b32 v9, a31
	v_mul_lo_u32 v2, v9, s72
	v_mul_lo_u32 v3, v8, s73
	v_mad_u64_u32 v[4:5], s[28:29], v8, s72, 0
	v_add3_u32 v5, v5, v3, v2
	v_accvgpr_read_b32 v2, a32
	v_accvgpr_read_b32 v3, a33
	v_sub_co_u32_e32 v2, vcc, v2, v4
	v_subb_co_u32_e32 v3, vcc, v3, v5, vcc
	v_cmp_lt_i64_e32 vcc, v[8:9], v[2:3]
	v_cndmask_b32_e32 v3, v2, v8, vcc
	v_max_i32_e32 v55, 0, v3
	v_add_u32_e32 v2, 31, v55
	v_lshrrev_b32_e32 v2, 1, v2
	v_and_b32_e32 v2, 0x3ffffff0, v2
	v_cmp_lt_i32_e32 vcc, 0, v3
	v_max_i32_e32 v2, s79, v2
	s_and_b64 s[28:29], s[58:59], vcc
	v_mov_b32_e32 v3, 0
	v_mov_b32_e32 v28, 0
	s_and_saveexec_b64 s[60:61], s[28:29]
	s_cbranch_execz .LBB4_678
; %bb.494:                              ;   in Loop: Header=BB4_47 Depth=1
	v_accvgpr_read_b32 v8, a34
	v_accvgpr_read_b32 v9, a35
	v_add_co_u32_e32 v4, vcc, v4, v8
	v_addc_co_u32_e32 v5, vcc, v5, v9, vcc
	v_lshlrev_b64 v[4:5], 2, v[4:5]
	v_accvgpr_write_b32 a39, v5
	s_mov_b32 s85, 1
	s_mov_b64 s[64:65], -1
	s_mov_b64 s[62:63], 0
	v_mov_b32_e32 v28, 0
	v_accvgpr_write_b32 a38, v4
	v_accvgpr_write_b32 a36, v55
	s_branch .LBB4_496
.LBB4_495:                              ;   in Loop: Header=BB4_496 Depth=2
	s_or_b64 exec, exec, s[28:29]
	v_add_u32_e32 v28, v2, v28
	v_cmp_ge_i32_e32 vcc, v28, v55
	s_xor_b64 s[28:29], s[64:65], -1
	s_or_b64 s[28:29], s[28:29], vcc
	s_and_b64 s[28:29], exec, s[28:29]
	s_or_b64 s[62:63], s[28:29], s[62:63]
	s_mov_b64 s[64:65], 0
	v_mov_b32_e32 v3, s85
	s_mov_b32 s85, 2
	s_andn2_b64 exec, exec, s[62:63]
	s_cbranch_execz .LBB4_753
.LBB4_496:                              ;   Parent Loop BB4_47 Depth=1
                                        ; =>  This Loop Header: Depth=2
                                        ;       Child Loop BB4_504 Depth 3
                                        ;       Child Loop BB4_532 Depth 3
	;; [unrolled: 1-line block ×9, first 2 shown]
                                        ;         Child Loop BB4_578 Depth 4
                                        ;       Child Loop BB4_595 Depth 3
                                        ;       Child Loop BB4_600 Depth 3
                                        ;         Child Loop BB4_601 Depth 4
                                        ;       Child Loop BB4_644 Depth 3
                                        ;       Child Loop BB4_663 Depth 3
	s_and_saveexec_b64 s[28:29], s[4:5]
	s_cbranch_execz .LBB4_498
; %bb.497:                              ;   in Loop: Header=BB4_496 Depth=2
	s_trap 2
	ds_read2_b64 v[8:11], v0 offset1:1
	ds_read_b64 v[4:5], v0
	v_accvgpr_read_b32 v14, a38
	v_accvgpr_read_b32 v15, a39
	v_ashrrev_i32_e32 v29, 31, v28
	s_waitcnt lgkmcnt(0)
	v_add_co_u32_e32 v3, vcc, v8, v14
	v_addc_co_u32_e32 v7, vcc, v9, v15, vcc
	v_lshlrev_b64 v[8:9], 2, v[28:29]
	v_add_co_u32_e32 v12, vcc, v3, v8
	v_addc_co_u32_e32 v13, vcc, v7, v9, vcc
	v_add_co_u32_e32 v3, vcc, v10, v14
	v_addc_co_u32_e32 v7, vcc, v11, v15, vcc
	;; [unrolled: 2-line block ×5, first 2 shown]
	v_cmp_ne_u64_e32 vcc, 0, v[4:5]
	v_cndmask_b32_e32 v5, 0, v7, vcc
	v_cndmask_b32_e32 v4, 0, v3, vcc
	ds_write_b64 v0, v[12:13]
	ds_write_b64 v0, v[10:11]
	;; [unrolled: 1-line block ×3, first 2 shown]
.LBB4_498:                              ;   in Loop: Header=BB4_496 Depth=2
	s_or_b64 exec, exec, s[28:29]
	v_and_b32_e32 v3, 12, v62
	v_cmp_ne_u32_e32 vcc, 0, v3
	s_mov_b64 s[30:31], -1
	s_and_saveexec_b64 s[28:29], vcc
	s_cbranch_execz .LBB4_510
; %bb.499:                              ;   in Loop: Header=BB4_496 Depth=2
	v_and_b32_e32 v4, 8, v62
	v_add_co_u32_e32 v10, vcc, v50, v4
	v_addc_co_u32_e32 v11, vcc, 0, v51, vcc
	v_add_co_u32_e32 v8, vcc, 2, v32
	v_addc_co_u32_e32 v9, vcc, 0, v33, vcc
	v_cmp_lt_u64_e32 vcc, v[10:11], v[8:9]
	v_mov_b32_e32 v3, 1
	s_and_saveexec_b64 s[30:31], vcc
	s_cbranch_execz .LBB4_509
; %bb.500:                              ;   in Loop: Header=BB4_496 Depth=2
	s_mov_b64 s[34:35], 0
	v_mov_b32_e32 v3, 0
                                        ; implicit-def: $sgpr36_sgpr37
	s_branch .LBB4_504
.LBB4_501:                              ;   in Loop: Header=BB4_504 Depth=3
	s_or_b64 exec, exec, s[44:45]
	v_mov_b32_e32 v5, 0
	s_orn2_b64 s[42:43], s[42:43], exec
.LBB4_502:                              ;   in Loop: Header=BB4_504 Depth=3
	s_or_b64 exec, exec, s[40:41]
	s_andn2_b64 vcc, s[36:37], exec
	s_and_b64 s[36:37], s[42:43], exec
	s_or_b64 s[36:37], vcc, s[36:37]
	v_mov_b32_e32 v3, v5
.LBB4_503:                              ;   in Loop: Header=BB4_504 Depth=3
	s_or_b64 exec, exec, s[38:39]
	s_waitcnt vmcnt(0) lgkmcnt(0)
	v_add_co_u32_e32 v10, vcc, v50, v4
	v_addc_co_u32_e32 v11, vcc, 0, v51, vcc
	v_cmp_ge_u64_e32 vcc, v[10:11], v[8:9]
	s_xor_b64 s[38:39], s[36:37], -1
	s_or_b64 vcc, s[38:39], vcc
	s_and_b64 vcc, exec, vcc
	s_or_b64 s[34:35], vcc, s[34:35]
	s_andn2_b64 exec, exec, s[34:35]
	s_cbranch_execz .LBB4_508
.LBB4_504:                              ;   Parent Loop BB4_47 Depth=1
                                        ;     Parent Loop BB4_496 Depth=2
                                        ; =>    This Inner Loop Header: Depth=3
	s_sleep 1
	flat_load_dwordx2 v[50:51], v[34:35] glc
	v_and_b32_e32 v5, 64, v62
	v_cmp_eq_u32_e32 vcc, 0, v5
	s_andn2_b64 s[36:37], s[36:37], exec
	s_and_saveexec_b64 s[38:39], vcc
	s_cbranch_execz .LBB4_503
; %bb.505:                              ;   in Loop: Header=BB4_504 Depth=3
	v_add_u32_e32 v5, 1, v3
	v_cmp_lt_i32_e32 vcc, s83, v3
	s_mov_b64 s[42:43], -1
	s_and_saveexec_b64 s[40:41], vcc
	s_cbranch_execz .LBB4_502
; %bb.506:                              ;   in Loop: Header=BB4_504 Depth=3
	s_trap 2
	ds_read_b64 v[10:11], v0
	s_waitcnt vmcnt(0) lgkmcnt(0)
	flat_load_dword v3, v[10:11] glc
	s_waitcnt vmcnt(0) lgkmcnt(0)
	buffer_invl2
	buffer_wbinvl1_vol
	v_cmp_ne_u32_e32 vcc, 0, v3
	s_and_saveexec_b64 s[44:45], vcc
	s_cbranch_execz .LBB4_501
; %bb.507:                              ;   in Loop: Header=BB4_504 Depth=3
	v_or_b32_e32 v62, 64, v62
	s_xor_b64 s[42:43], exec, -1
	ds_write_b32 v0, v3
	s_trap 2
	s_branch .LBB4_501
.LBB4_508:                              ;   in Loop: Header=BB4_496 Depth=2
	s_or_b64 exec, exec, s[34:35]
	v_and_b32_e32 v3, 12, v62
.LBB4_509:                              ;   in Loop: Header=BB4_496 Depth=2
	s_or_b64 exec, exec, s[30:31]
	v_cmp_eq_u32_e32 vcc, 0, v3
	s_orn2_b64 s[30:31], vcc, exec
	;;#ASMSTART
	s_wakeup
	;;#ASMEND
.LBB4_510:                              ;   in Loop: Header=BB4_496 Depth=2
	s_or_b64 exec, exec, s[28:29]
	v_sub_u32_e32 v3, v55, v28
	s_xor_b64 s[28:29], s[30:31], -1
	v_min_i32_e32 v2, v2, v3
	s_and_saveexec_b64 s[30:31], s[28:29]
	s_cbranch_execz .LBB4_524
; %bb.511:                              ;   in Loop: Header=BB4_496 Depth=2
	v_and_b32_e32 v3, 0x108, v62
	v_cmp_ne_u32_e32 vcc, s84, v3
	v_and_b32_e32 v4, 7, v32
	s_and_saveexec_b64 s[28:29], vcc
	s_xor_b64 s[28:29], exec, s[28:29]
                                        ; implicit-def: $vgpr8_vgpr9
; %bb.512:                              ;   in Loop: Header=BB4_496 Depth=2
	v_mov_b32_e32 v9, v6
; %bb.513:                              ;   in Loop: Header=BB4_496 Depth=2
	s_andn2_saveexec_b64 s[28:29], s[28:29]
	s_cbranch_execz .LBB4_515
; %bb.514:                              ;   in Loop: Header=BB4_496 Depth=2
	v_ashrrev_i32_e32 v3, 31, v2
	v_mov_b32_e32 v9, v6
	v_mad_u64_u32 v[10:11], vcc, v4, 24, v[44:45]
	v_lshlrev_b64 v[12:13], 2, v[2:3]
	flat_store_dwordx2 v[10:11], v[12:13] offset:8
.LBB4_515:                              ;   in Loop: Header=BB4_496 Depth=2
	s_or_b64 exec, exec, s[28:29]
	v_and_b32_e32 v3, 0x100, v62
	v_cmp_ne_u32_e32 vcc, 0, v3
	s_mov_b64 s[28:29], -1
                                        ; implicit-def: $vgpr10_vgpr11
	s_and_saveexec_b64 s[34:35], vcc
	s_cbranch_execz .LBB4_519
; %bb.516:                              ;   in Loop: Header=BB4_496 Depth=2
	v_mad_u64_u32 v[12:13], s[28:29], v4, 24, v[44:45]
	v_mov_b32_e32 v8, v13
	v_mad_u64_u32 v[10:11], s[28:29], v9, 24, v[8:9]
	v_mov_b32_e32 v13, v10
	flat_load_dword v3, v[12:13]
                                        ; implicit-def: $vgpr10_vgpr11
	s_waitcnt vmcnt(0) lgkmcnt(0)
	v_cmp_ne_u32_e32 vcc, 1, v3
	v_cmp_eq_u32_e64 s[28:29], 1, v3
	s_and_saveexec_b64 s[36:37], s[28:29]
	s_cbranch_execz .LBB4_518
; %bb.517:                              ;   in Loop: Header=BB4_496 Depth=2
	flat_load_dword v10, v[12:13] offset:4 glc
	s_waitcnt vmcnt(0) lgkmcnt(0)
	v_ashrrev_i32_e32 v11, 31, v10
	v_lshrrev_b64 v[10:11], 2, v[10:11]
.LBB4_518:                              ;   in Loop: Header=BB4_496 Depth=2
	s_or_b64 exec, exec, s[36:37]
	s_orn2_b64 s[28:29], vcc, exec
.LBB4_519:                              ;   in Loop: Header=BB4_496 Depth=2
	s_or_b64 exec, exec, s[34:35]
	s_and_saveexec_b64 vcc, s[28:29]
; %bb.520:                              ;   in Loop: Header=BB4_496 Depth=2
	v_mul_lo_u32 v3, v9, v30
	v_mul_lo_u32 v5, v4, v47
	v_mad_u64_u32 v[10:11], s[28:29], v4, v30, 0
	v_add3_u32 v11, v11, v5, v3
; %bb.521:                              ;   in Loop: Header=BB4_496 Depth=2
	s_or_b64 exec, exec, vcc
	v_lshlrev_b64 v[4:5], 2, v[10:11]
	v_add_co_u32_e32 v4, vcc, v40, v4
	v_addc_co_u32_e32 v5, vcc, v41, v5, vcc
	v_and_b32_e32 v3, 0x2000, v62
	v_cmp_ne_u32_e32 vcc, 0, v3
	s_trap 2
	ds_write_b64 v0, v[4:5]
	s_and_saveexec_b64 s[28:29], vcc
	s_cbranch_execz .LBB4_523
; %bb.522:                              ;   in Loop: Header=BB4_496 Depth=2
	ds_read_b64 v[4:5], v0 offset:584
	s_waitcnt lgkmcnt(0)
	v_add_co_u32_e32 v4, vcc, 1, v4
	v_addc_co_u32_e32 v5, vcc, 0, v5, vcc
	ds_write_b64 v0, v[4:5] offset:584
.LBB4_523:                              ;   in Loop: Header=BB4_496 Depth=2
	s_or_b64 exec, exec, s[28:29]
	v_add_co_u32_e32 v32, vcc, 2, v32
	v_addc_co_u32_e32 v33, vcc, 0, v33, vcc
.LBB4_524:                              ;   in Loop: Header=BB4_496 Depth=2
	s_or_b64 exec, exec, s[30:31]
	s_and_saveexec_b64 s[28:29], s[10:11]
	s_cbranch_execz .LBB4_543
; %bb.525:                              ;   in Loop: Header=BB4_496 Depth=2
	s_and_saveexec_b64 vcc, s[52:53]
	s_xor_b64 s[30:31], exec, vcc
	s_cbranch_execz .LBB4_540
; %bb.526:                              ;   in Loop: Header=BB4_496 Depth=2
	s_and_saveexec_b64 s[34:35], s[16:17]
	s_cbranch_execz .LBB4_539
; %bb.527:                              ;   in Loop: Header=BB4_496 Depth=2
	s_mov_b64 s[38:39], exec
	v_mbcnt_lo_u32_b32 v3, s38, 0
	v_mbcnt_hi_u32_b32 v3, s39, v3
	v_cmp_eq_u32_e32 vcc, 0, v3
	s_waitcnt vmcnt(0) lgkmcnt(0)
	buffer_wbinvl1_vol
	s_and_saveexec_b64 s[36:37], vcc
	s_cbranch_execz .LBB4_529
; %bb.528:                              ;   in Loop: Header=BB4_496 Depth=2
	s_bcnt1_i32_b64 vcc_lo, s[38:39]
	v_mov_b32_e32 v4, vcc_lo
	v_mov_b32_e32 v5, v6
	ds_add_u64 v0, v[4:5]
	s_trap 2
.LBB4_529:                              ;   in Loop: Header=BB4_496 Depth=2
	s_or_b64 exec, exec, s[36:37]
	s_trap 2
	ds_read_b64 v[4:5], v0
	v_add_co_u32_e32 v48, vcc, v48, v36
	v_addc_co_u32_e32 v49, vcc, 0, v49, vcc
	s_waitcnt lgkmcnt(0)
	v_cmp_lt_u64_e32 vcc, v[4:5], v[48:49]
	s_and_saveexec_b64 s[36:37], vcc
	s_cbranch_execz .LBB4_538
; %bb.530:                              ;   in Loop: Header=BB4_496 Depth=2
	s_mov_b32 s68, 0
	s_mov_b64 s[38:39], 0
                                        ; implicit-def: $sgpr40_sgpr41
                                        ; implicit-def: $sgpr42_sgpr43
	s_branch .LBB4_532
.LBB4_531:                              ;   in Loop: Header=BB4_532 Depth=3
	s_or_b64 exec, exec, s[66:67]
	s_and_b64 vcc, exec, vcc
	s_or_b64 s[38:39], vcc, s[38:39]
	s_andn2_b64 vcc, s[40:41], exec
	s_and_b64 s[40:41], s[42:43], exec
	s_or_b64 s[40:41], vcc, s[40:41]
	s_andn2_b64 exec, exec, s[38:39]
	s_cbranch_execz .LBB4_536
.LBB4_532:                              ;   Parent Loop BB4_47 Depth=1
                                        ;     Parent Loop BB4_496 Depth=2
                                        ; =>    This Inner Loop Header: Depth=3
	s_add_i32 s68, s68, 1
	s_cmpk_lg_i32 s68, 0x2710
	s_cselect_b64 s[44:45], -1, 0
	s_and_b64 vcc, exec, s[44:45]
                                        ; implicit-def: $sgpr66_sgpr67
	s_cbranch_vccnz .LBB4_534
; %bb.533:                              ;   in Loop: Header=BB4_532 Depth=3
	s_trap 2
	ds_read_b64 v[4:5], v0
	s_andn2_b64 s[44:45], s[44:45], exec
	s_mov_b32 s68, 0
	s_mov_b64 s[66:67], -1
	s_waitcnt lgkmcnt(0)
	flat_load_dword v3, v[4:5] glc
	s_waitcnt vmcnt(0) lgkmcnt(0)
	buffer_invl2
	buffer_wbinvl1_vol
	v_cmp_eq_u32_e32 vcc, 0, v3
	s_and_b64 vcc, vcc, exec
	s_or_b64 s[44:45], s[44:45], vcc
.LBB4_534:                              ;   in Loop: Header=BB4_532 Depth=3
	s_andn2_b64 s[42:43], s[42:43], exec
	s_and_b64 s[66:67], s[66:67], exec
	s_mov_b64 vcc, -1
	s_or_b64 s[42:43], s[42:43], s[66:67]
	s_and_saveexec_b64 s[66:67], s[44:45]
	s_cbranch_execz .LBB4_531
; %bb.535:                              ;   in Loop: Header=BB4_532 Depth=3
	s_sleep 1
	s_trap 2
	ds_read_b64 v[4:5], v0
	s_andn2_b64 s[42:43], s[42:43], exec
	s_waitcnt lgkmcnt(0)
	v_cmp_ge_u64_e32 vcc, v[4:5], v[48:49]
	s_orn2_b64 vcc, vcc, exec
	s_branch .LBB4_531
.LBB4_536:                              ;   in Loop: Header=BB4_496 Depth=2
	s_or_b64 exec, exec, s[38:39]
	s_and_saveexec_b64 vcc, s[40:41]
	s_xor_b64 vcc, exec, vcc
	s_cbranch_execz .LBB4_538
; %bb.537:                              ;   in Loop: Header=BB4_496 Depth=2
	ds_write_b32 v0, v46
	s_trap 2
.LBB4_538:                              ;   in Loop: Header=BB4_496 Depth=2
	s_or_b64 exec, exec, s[36:37]
	;;#ASMSTART
	s_wakeup
	;;#ASMEND
.LBB4_539:                              ;   in Loop: Header=BB4_496 Depth=2
	s_or_b64 exec, exec, s[34:35]
.LBB4_540:                              ;   in Loop: Header=BB4_496 Depth=2
	s_andn2_saveexec_b64 vcc, s[30:31]
	s_cbranch_execz .LBB4_542
; %bb.541:                              ;   in Loop: Header=BB4_496 Depth=2
	s_waitcnt vmcnt(0) lgkmcnt(0)
	buffer_wbinvl1_vol
	s_barrier
.LBB4_542:                              ;   in Loop: Header=BB4_496 Depth=2
	s_or_b64 exec, exec, vcc
.LBB4_543:                              ;   in Loop: Header=BB4_496 Depth=2
	s_or_b64 exec, exec, s[28:29]
	s_trap 2
	ds_read_b32 v4, v0
	v_and_b32_e32 v3, 0x4000, v62
	v_cmp_ne_u32_e32 vcc, 0, v3
	s_xor_b64 s[28:29], s[6:7], -1
	s_and_b64 vcc, s[28:29], vcc
	s_and_saveexec_b64 s[28:29], vcc
	s_cbranch_execz .LBB4_562
; %bb.544:                              ;   in Loop: Header=BB4_496 Depth=2
	s_and_saveexec_b64 vcc, s[52:53]
	s_xor_b64 s[30:31], exec, vcc
	s_cbranch_execz .LBB4_559
; %bb.545:                              ;   in Loop: Header=BB4_496 Depth=2
	s_and_saveexec_b64 s[34:35], s[16:17]
	s_cbranch_execz .LBB4_558
; %bb.546:                              ;   in Loop: Header=BB4_496 Depth=2
	s_mov_b64 s[38:39], exec
	v_mbcnt_lo_u32_b32 v3, s38, 0
	v_mbcnt_hi_u32_b32 v3, s39, v3
	v_cmp_eq_u32_e32 vcc, 0, v3
	s_waitcnt vmcnt(0) lgkmcnt(0)
	buffer_wbinvl1_vol
	s_and_saveexec_b64 s[36:37], vcc
	s_cbranch_execz .LBB4_548
; %bb.547:                              ;   in Loop: Header=BB4_496 Depth=2
	s_bcnt1_i32_b64 vcc_lo, s[38:39]
	v_mov_b32_e32 v8, vcc_lo
	v_mov_b32_e32 v9, v6
	ds_add_u64 v0, v[8:9]
	s_trap 2
.LBB4_548:                              ;   in Loop: Header=BB4_496 Depth=2
	s_or_b64 exec, exec, s[36:37]
	s_trap 2
	ds_read_b64 v[8:9], v0
	v_add_co_u32_e32 v48, vcc, v48, v36
	v_addc_co_u32_e32 v49, vcc, 0, v49, vcc
	s_waitcnt lgkmcnt(0)
	v_cmp_lt_u64_e32 vcc, v[8:9], v[48:49]
	s_and_saveexec_b64 s[36:37], vcc
	s_cbranch_execz .LBB4_557
; %bb.549:                              ;   in Loop: Header=BB4_496 Depth=2
	s_mov_b32 s68, 0
	s_mov_b64 s[38:39], 0
                                        ; implicit-def: $sgpr40_sgpr41
                                        ; implicit-def: $sgpr42_sgpr43
	s_branch .LBB4_551
.LBB4_550:                              ;   in Loop: Header=BB4_551 Depth=3
	s_or_b64 exec, exec, s[66:67]
	s_and_b64 vcc, exec, vcc
	s_or_b64 s[38:39], vcc, s[38:39]
	s_andn2_b64 vcc, s[40:41], exec
	s_and_b64 s[40:41], s[42:43], exec
	s_or_b64 s[40:41], vcc, s[40:41]
	s_andn2_b64 exec, exec, s[38:39]
	s_cbranch_execz .LBB4_555
.LBB4_551:                              ;   Parent Loop BB4_47 Depth=1
                                        ;     Parent Loop BB4_496 Depth=2
                                        ; =>    This Inner Loop Header: Depth=3
	s_add_i32 s68, s68, 1
	s_cmpk_lg_i32 s68, 0x2710
	s_cselect_b64 s[44:45], -1, 0
	s_and_b64 vcc, exec, s[44:45]
                                        ; implicit-def: $sgpr66_sgpr67
	s_cbranch_vccnz .LBB4_553
; %bb.552:                              ;   in Loop: Header=BB4_551 Depth=3
	s_trap 2
	ds_read_b64 v[8:9], v0
	s_andn2_b64 s[44:45], s[44:45], exec
	s_mov_b32 s68, 0
	s_mov_b64 s[66:67], -1
	s_waitcnt lgkmcnt(0)
	flat_load_dword v3, v[8:9] glc
	s_waitcnt vmcnt(0) lgkmcnt(0)
	buffer_invl2
	buffer_wbinvl1_vol
	v_cmp_eq_u32_e32 vcc, 0, v3
	s_and_b64 vcc, vcc, exec
	s_or_b64 s[44:45], s[44:45], vcc
.LBB4_553:                              ;   in Loop: Header=BB4_551 Depth=3
	s_andn2_b64 s[42:43], s[42:43], exec
	s_and_b64 s[66:67], s[66:67], exec
	s_mov_b64 vcc, -1
	s_or_b64 s[42:43], s[42:43], s[66:67]
	s_and_saveexec_b64 s[66:67], s[44:45]
	s_cbranch_execz .LBB4_550
; %bb.554:                              ;   in Loop: Header=BB4_551 Depth=3
	s_sleep 1
	s_trap 2
	ds_read_b64 v[8:9], v0
	s_andn2_b64 s[42:43], s[42:43], exec
	s_waitcnt lgkmcnt(0)
	v_cmp_ge_u64_e32 vcc, v[8:9], v[48:49]
	s_orn2_b64 vcc, vcc, exec
	s_branch .LBB4_550
.LBB4_555:                              ;   in Loop: Header=BB4_496 Depth=2
	s_or_b64 exec, exec, s[38:39]
	s_and_saveexec_b64 vcc, s[40:41]
	s_xor_b64 vcc, exec, vcc
	s_cbranch_execz .LBB4_557
; %bb.556:                              ;   in Loop: Header=BB4_496 Depth=2
	ds_write_b32 v0, v46
	s_trap 2
.LBB4_557:                              ;   in Loop: Header=BB4_496 Depth=2
	s_or_b64 exec, exec, s[36:37]
	;;#ASMSTART
	s_wakeup
	;;#ASMEND
.LBB4_558:                              ;   in Loop: Header=BB4_496 Depth=2
	s_or_b64 exec, exec, s[34:35]
.LBB4_559:                              ;   in Loop: Header=BB4_496 Depth=2
	s_andn2_saveexec_b64 vcc, s[30:31]
	s_cbranch_execz .LBB4_561
; %bb.560:                              ;   in Loop: Header=BB4_496 Depth=2
	s_waitcnt vmcnt(0) lgkmcnt(0)
	buffer_wbinvl1_vol
	s_barrier
.LBB4_561:                              ;   in Loop: Header=BB4_496 Depth=2
	s_or_b64 exec, exec, vcc
.LBB4_562:                              ;   in Loop: Header=BB4_496 Depth=2
	s_or_b64 exec, exec, s[28:29]
	s_trap 2
	ds_read_b64 v[8:9], v0
	v_mov_b32_e32 v3, 0
	s_waitcnt lgkmcnt(0)
	v_readfirstlane_b32 s28, v8
	v_readfirstlane_b32 s29, v9
	s_cmp_eq_u64 s[28:29], 0
	s_cselect_b64 s[28:29], -1, 0
	s_or_b64 s[28:29], s[28:29], s[28:29]
	s_and_b64 vcc, exec, s[28:29]
	s_cbranch_vccnz .LBB4_585
; %bb.563:                              ;   in Loop: Header=BB4_496 Depth=2
	s_trap 2
	ds_read_b64 v[40:41], v0
	v_cmp_eq_u32_e32 vcc, 0, v4
	v_cndmask_b32_e32 v3, 0, v2, vcc
	v_lshlrev_b32_e32 v29, 2, v3
	s_waitcnt lgkmcnt(0)
	v_cmp_ne_u64_e32 vcc, 0, v[40:41]
	s_cbranch_vccz .LBB4_590
; %bb.564:                              ;   in Loop: Header=BB4_496 Depth=2
	s_mov_b64 s[30:31], -1
	s_and_saveexec_b64 s[28:29], s[22:23]
	s_cbranch_execz .LBB4_566
; %bb.565:                              ;   in Loop: Header=BB4_496 Depth=2
	ds_read_b32 v4, v0 offset:720
	s_waitcnt lgkmcnt(0)
	v_and_b32_e32 v4, 15, v4
	v_cmp_eq_u32_e32 vcc, 0, v4
	s_orn2_b64 s[30:31], vcc, exec
.LBB4_566:                              ;   in Loop: Header=BB4_496 Depth=2
	s_or_b64 exec, exec, s[28:29]
	s_and_saveexec_b64 s[28:29], s[22:23]
	s_cbranch_execz .LBB4_568
; %bb.567:                              ;   in Loop: Header=BB4_496 Depth=2
	ds_read_b32 v4, v0 offset:784
	s_waitcnt lgkmcnt(0)
	v_and_b32_e32 v4, 15, v4
	v_cmp_eq_u32_e32 vcc, 0, v4
	s_and_b64 vcc, s[30:31], vcc
	s_andn2_b64 s[30:31], s[30:31], exec
	s_and_b64 vcc, vcc, exec
	s_or_b64 s[30:31], s[30:31], vcc
.LBB4_568:                              ;   in Loop: Header=BB4_496 Depth=2
	s_or_b64 exec, exec, s[28:29]
	s_xor_b64 vcc, s[30:31], -1
	v_cndmask_b32_e64 v4, 0, 1, vcc
	s_mov_b64 s[28:29], -1
	;;#ASMSTART
	;;#ASMEND
	v_cmp_ne_u32_e32 vcc, 0, v4
	s_cbranch_vccz .LBB4_591
; %bb.569:                              ;   in Loop: Header=BB4_496 Depth=2
	v_alignbit_b32 v41, v40, v40, 1
	v_readfirstlane_b32 s28, v41
	s_and_b32 s86, s28, 0x7fffffff
	s_mov_b64 s[66:67], -1
	s_mov_b32 s30, 0
	s_cbranch_execnz .LBB4_592
.LBB4_570:                              ;   in Loop: Header=BB4_496 Depth=2
	v_ashrrev_i32_e32 v4, 31, v29
	v_lshrrev_b32_e32 v4, 21, v4
	v_add_u32_e32 v4, v29, v4
	v_ashrrev_i32_e32 v4, 11, v4
	v_alignbit_b32 v41, v40, v40, 1
	v_readfirstlane_b32 s28, v41
	v_sub_u32_e32 v53, v4, v0
	s_and_b32 s86, s28, 0x7fffffff
	v_cmp_lt_i32_e32 vcc, 0, v53
	s_and_saveexec_b64 s[68:69], vcc
	s_cbranch_execz .LBB4_574
; %bb.571:                              ;   in Loop: Header=BB4_496 Depth=2
	v_accvgpr_write_b32 a37, v4
	v_cvt_f32_u32_e32 v4, s86
	s_trap 2
	ds_read_b128 v[8:11], v0
	s_sub_i32 s28, 0, s86
	v_rcp_iflag_f32_e32 v4, v4
	v_accvgpr_read_b32 v12, a26
	v_accvgpr_write_b32 a3, v60
	v_accvgpr_read_b32 v13, a27
	v_mul_f32_e32 v4, 0x4f7ffffe, v4
	v_cvt_u32_f32_e32 v4, v4
	s_waitcnt lgkmcnt(0)
	v_add_co_u32_e32 v60, vcc, v8, v12
	v_accvgpr_write_b32 a20, v61
	v_readfirstlane_b32 s29, v4
	s_mul_i32 s28, s28, s29
	s_mul_hi_u32 s28, s29, s28
	s_add_i32 s29, s29, s28
	s_mul_hi_u32 s28, s29, -1
	s_mul_i32 s29, s28, s86
	v_addc_co_u32_e32 v61, vcc, v9, v13, vcc
	s_not_b32 s29, s29
	s_add_i32 vcc_lo, s28, 1
	s_sub_i32 vcc_hi, s29, s86
	s_cmp_ge_u32 s29, s86
	s_cselect_b32 s28, vcc_lo, s28
	s_cselect_b32 s29, vcc_hi, s29
	s_add_i32 vcc_lo, s28, 1
	s_cmp_ge_u32 s29, s86
	s_cselect_b32 s87, vcc_lo, s28
	v_add_co_u32_e32 v24, vcc, v10, v12
	v_addc_co_u32_e32 v25, vcc, v11, v13, vcc
	s_mov_b64 s[70:71], 0
	v_pk_mov_b32 v[4:5], v[60:61], v[60:61] op_sel:[0,1]
	v_pk_mov_b32 v[56:57], v[24:25], v[24:25] op_sel:[0,1]
.LBB4_572:                              ;   Parent Loop BB4_47 Depth=1
                                        ;     Parent Loop BB4_496 Depth=2
                                        ; =>    This Inner Loop Header: Depth=3
	global_load_dwordx4 v[16:19], v[24:25], off glc slc
	global_load_dwordx4 v[20:23], v[60:61], off glc slc
	global_load_dwordx4 v[8:11], v[60:61], off offset:1024 glc slc
	global_load_dwordx4 v[12:15], v[24:25], off offset:1024 glc slc
	v_add_co_u32_e32 v60, vcc, v60, v58
	v_addc_co_u32_e32 v61, vcc, v61, v59, vcc
	v_add_co_u32_e32 v24, vcc, v24, v58
	v_addc_co_u32_e32 v25, vcc, v25, v59, vcc
	v_sub_u32_e32 v53, v53, v36
	v_cmp_gt_i32_e32 vcc, 1, v53
	s_or_b64 s[70:71], vcc, s[70:71]
	s_waitcnt vmcnt(0)
	v_add_u32_e32 v7, v16, v20
	v_add_co_u32_e32 v16, vcc, 0, v20
	v_addc_co_u32_e32 v16, vcc, v17, v21, vcc
	v_add_u32_e32 v17, v18, v22
	v_add_co_u32_e32 v18, vcc, 0, v22
	v_addc_co_u32_e32 v18, vcc, v19, v23, vcc
	;; [unrolled: 3-line block ×4, first 2 shown]
	v_and_b32_e32 v11, v41, v7
	v_sub_u32_e32 v13, 0, v7
	v_and_b32_e32 v14, v41, v16
	v_cmp_lt_i32_e32 vcc, -1, v11
	v_sub_u32_e32 v15, 0, v16
	v_cndmask_b32_e32 v7, v13, v7, vcc
	v_cmp_lt_i32_e64 s[28:29], -1, v14
	v_and_b32_e32 v23, v41, v12
	v_cndmask_b32_e64 v11, v15, v16, s[28:29]
	v_mul_hi_u32 v15, v7, s87
	v_and_b32_e32 v19, v41, v17
	v_cmp_lt_i32_e64 s[36:37], -1, v23
	v_mul_lo_u32 v23, s86, v15
	v_sub_u32_e32 v20, 0, v17
	v_sub_u32_e32 v38, 0, v12
	v_cmp_lt_i32_e64 s[30:31], -1, v19
	v_mul_hi_u32 v16, v11, s87
	v_sub_u32_e32 v7, v7, v23
	v_and_b32_e32 v21, v41, v18
	v_cndmask_b32_e64 v13, v20, v17, s[30:31]
	v_cndmask_b32_e64 v12, v38, v12, s[36:37]
	v_mul_lo_u32 v38, s86, v16
	v_cmp_le_u32_e64 s[44:45], s86, v7
	v_sub_u32_e32 v22, 0, v18
	v_and_b32_e32 v39, v41, v8
	v_cmp_lt_i32_e64 s[34:35], -1, v21
	v_mul_hi_u32 v17, v13, s87
	v_sub_u32_e32 v11, v11, v38
	v_addc_co_u32_e64 v7, s[44:45], 0, v15, s[44:45]
	v_cndmask_b32_e64 v14, v22, v18, s[34:35]
	v_cmp_lt_i32_e64 s[38:39], -1, v39
	v_mul_lo_u32 v39, s86, v17
	v_cmp_le_u32_e64 s[44:45], s86, v11
	v_sub_u32_e32 v52, 0, v8
	v_mul_hi_u32 v18, v14, s87
	v_sub_u32_e32 v13, v13, v39
	v_addc_co_u32_e64 v11, s[44:45], 0, v16, s[44:45]
	v_cndmask_b32_e64 v8, v52, v8, s[38:39]
	v_mul_lo_u32 v52, s86, v18
	v_cmp_le_u32_e64 s[44:45], s86, v13
	v_and_b32_e32 v54, v41, v9
	v_mul_hi_u32 v19, v12, s87
	v_sub_u32_e32 v14, v14, v52
	v_addc_co_u32_e64 v13, s[44:45], 0, v17, s[44:45]
	v_cmp_lt_i32_e64 s[40:41], -1, v54
	v_mul_lo_u32 v54, s86, v19
	v_cmp_le_u32_e64 s[44:45], s86, v14
	v_sub_u32_e32 v55, 0, v9
	v_mul_hi_u32 v20, v8, s87
	v_sub_u32_e32 v12, v12, v54
	v_addc_co_u32_e64 v14, s[44:45], 0, v18, s[44:45]
	v_and_b32_e32 v44, v41, v10
	v_cndmask_b32_e64 v9, v55, v9, s[40:41]
	v_mul_lo_u32 v55, s86, v20
	v_cmp_le_u32_e64 s[44:45], s86, v12
	v_sub_u32_e32 v45, 0, v10
	v_cmp_lt_i32_e64 s[42:43], -1, v44
	v_mul_hi_u32 v21, v9, s87
	v_sub_u32_e32 v8, v8, v55
	v_addc_co_u32_e64 v12, s[44:45], 0, v19, s[44:45]
	v_cndmask_b32_e64 v10, v45, v10, s[42:43]
	v_mul_lo_u32 v44, s86, v21
	v_cmp_le_u32_e64 s[44:45], s86, v8
	v_mul_hi_u32 v22, v10, s87
	v_sub_u32_e32 v9, v9, v44
	v_addc_co_u32_e64 v15, s[44:45], 0, v20, s[44:45]
	v_mul_lo_u32 v45, s86, v22
	v_cmp_le_u32_e64 s[44:45], s86, v9
	v_sub_u32_e32 v10, v10, v45
	v_addc_co_u32_e64 v16, s[44:45], 0, v21, s[44:45]
	v_cmp_le_u32_e64 s[44:45], s86, v10
	v_addc_co_u32_e64 v17, s[44:45], 0, v22, s[44:45]
	v_sub_u32_e32 v8, 0, v7
	v_sub_u32_e32 v9, 0, v11
	v_sub_u32_e32 v10, 0, v13
	v_sub_u32_e32 v18, 0, v14
	v_sub_u32_e32 v19, 0, v12
	v_sub_u32_e32 v20, 0, v15
	v_sub_u32_e32 v21, 0, v16
	v_sub_u32_e32 v22, 0, v17
	v_cndmask_b32_e32 v8, v8, v7, vcc
	v_cndmask_b32_e64 v9, v9, v11, s[28:29]
	v_cndmask_b32_e64 v10, v10, v13, s[30:31]
	v_cndmask_b32_e64 v11, v18, v14, s[34:35]
	v_cndmask_b32_e64 v12, v19, v12, s[36:37]
	v_cndmask_b32_e64 v13, v20, v15, s[38:39]
	v_cndmask_b32_e64 v14, v21, v16, s[40:41]
	v_cndmask_b32_e64 v15, v22, v17, s[42:43]
	global_store_dwordx4 v[4:5], v[8:11], off glc slc
	global_store_dwordx4 v[4:5], v[12:15], off offset:1024 glc slc
	global_store_dwordx4 v[56:57], v[8:11], off glc slc
	global_store_dwordx4 v[56:57], v[12:15], off offset:1024 glc slc
	v_add_co_u32_e32 v4, vcc, v4, v58
	v_addc_co_u32_e32 v5, vcc, v5, v59, vcc
	v_add_co_u32_e32 v56, vcc, v56, v58
	v_addc_co_u32_e32 v57, vcc, v57, v59, vcc
	s_andn2_b64 exec, exec, s[70:71]
	s_cbranch_execnz .LBB4_572
; %bb.573:                              ;   in Loop: Header=BB4_496 Depth=2
	s_or_b64 exec, exec, s[70:71]
	v_accvgpr_read_b32 v45, a13
	v_accvgpr_read_b32 v39, a17
	v_accvgpr_read_b32 v18, a18
	v_accvgpr_read_b32 v60, a3
	v_accvgpr_read_b32 v44, a12
	v_accvgpr_read_b32 v38, a16
	v_accvgpr_read_b32 v19, a19
	v_accvgpr_read_b32 v61, a20
	v_accvgpr_read_b32 v54, a22
	v_accvgpr_read_b32 v57, a25
	v_accvgpr_read_b32 v55, a36
	v_accvgpr_read_b32 v4, a37
.LBB4_574:                              ;   in Loop: Header=BB4_496 Depth=2
	s_or_b64 exec, exec, s[68:69]
	v_lshlrev_b32_e32 v22, 11, v4
	v_cmp_ne_u32_e32 vcc, v29, v22
                                        ; implicit-def: $vgpr15
                                        ; implicit-def: $vgpr14
                                        ; implicit-def: $vgpr16
                                        ; implicit-def: $vgpr4
	s_and_saveexec_b64 s[40:41], vcc
	s_cbranch_execz .LBB4_584
; %bb.575:                              ;   in Loop: Header=BB4_496 Depth=2
	v_lshlrev_b32_e32 v4, 6, v53
	v_sub_u32_e32 v4, v57, v4
	v_ashrrev_i32_e32 v7, 31, v4
	v_lshrrev_b32_e32 v7, 26, v7
	v_add_u32_e32 v7, v4, v7
	v_sub_u32_e32 v5, v29, v22
	v_ashrrev_i32_e32 v8, 6, v7
	v_and_b32_e32 v7, 0xffffffc0, v7
	v_sub_u32_e32 v23, v4, v7
	v_ashrrev_i32_e32 v7, 31, v5
	v_lshrrev_b32_e32 v7, 22, v7
	v_add_u32_e32 v7, v5, v7
	v_and_b32_e32 v24, 0xfffffc00, v7
	v_lshlrev_b32_e32 v4, 4, v23
	v_sub_u32_e32 v53, v5, v24
	v_lshl_add_u32 v4, v8, 10, v4
	v_ashrrev_i32_e32 v9, 10, v7
	v_cmp_lt_i32_e64 s[28:29], 15, v53
	v_sub_u32_e32 v56, v5, v4
	v_addc_co_u32_e64 v5, vcc, 0, v9, s[28:29]
	v_sub_u32_e32 v25, v5, v8
	v_cmp_lt_i32_e32 vcc, 15, v56
	s_and_saveexec_b64 s[42:43], vcc
	s_cbranch_execz .LBB4_581
; %bb.576:                              ;   in Loop: Header=BB4_496 Depth=2
	v_cvt_f32_u32_e32 v5, s86
	v_add_u32_e32 v7, v4, v22
	s_sub_i32 vcc_lo, 0, s86
	s_trap 2
	v_rcp_iflag_f32_e32 v5, v5
	ds_read_b128 v[8:11], v0
	v_ashrrev_i32_e32 v12, 31, v7
	s_mov_b64 s[44:45], 0
	v_mul_f32_e32 v4, 0x4f7ffffe, v5
	v_cvt_u32_f32_e32 v4, v4
	v_readfirstlane_b32 vcc_hi, v4
	s_mul_i32 vcc_lo, vcc_lo, vcc_hi
	s_mul_hi_u32 vcc_lo, vcc_hi, vcc_lo
	s_add_i32 vcc_hi, vcc_hi, vcc_lo
	s_mul_hi_u32 vcc_lo, vcc_hi, -1
	s_mul_i32 vcc_hi, vcc_lo, s86
	s_not_b32 vcc_hi, vcc_hi
	s_add_i32 s30, vcc_lo, 1
	s_sub_i32 s31, vcc_hi, s86
	s_cmp_ge_u32 vcc_hi, s86
	s_cselect_b32 vcc_lo, s30, vcc_lo
	s_cselect_b32 vcc_hi, s31, vcc_hi
	s_add_i32 s30, vcc_lo, 1
	s_cmp_ge_u32 vcc_hi, s86
	s_cselect_b32 s70, s30, vcc_lo
	s_waitcnt lgkmcnt(0)
	v_add_co_u32_e32 v4, vcc, v8, v7
	v_addc_co_u32_e32 v5, vcc, v9, v12, vcc
	v_add_co_u32_e32 v16, vcc, v10, v7
	v_addc_co_u32_e32 v17, vcc, v11, v12, vcc
	v_pk_mov_b32 v[18:19], v[4:5], v[4:5] op_sel:[0,1]
	v_pk_mov_b32 v[20:21], v[16:17], v[16:17] op_sel:[0,1]
.LBB4_577:                              ;   Parent Loop BB4_47 Depth=1
                                        ;     Parent Loop BB4_496 Depth=2
                                        ; =>    This Loop Header: Depth=3
                                        ;         Child Loop BB4_578 Depth 4
	global_load_dwordx4 v[8:11], v[18:19], off glc slc
	global_load_dwordx4 v[12:15], v[20:21], off glc slc
	s_mov_b64 s[68:69], -1
	s_waitcnt vmcnt(0)
	v_add_u32_e32 v7, v12, v8
	v_add_co_u32_e32 v8, vcc, 0, v8
	v_addc_co_u32_e32 v8, vcc, v13, v9, vcc
	v_add_u32_e32 v9, v14, v10
	v_add_co_u32_e32 v10, vcc, 0, v10
	v_addc_co_u32_e32 v10, vcc, v15, v11, vcc
	v_and_b32_e32 v11, v41, v7
	v_sub_u32_e32 v12, 0, v7
	v_cmp_lt_i32_e32 vcc, -1, v11
	v_and_b32_e32 v13, v41, v8
	v_cndmask_b32_e32 v7, v12, v7, vcc
	v_sub_u32_e32 v14, 0, v8
	v_and_b32_e32 v15, v41, v9
	v_cmp_lt_i32_e64 s[30:31], -1, v13
	v_mul_hi_u32 v11, v7, s70
	v_cndmask_b32_e64 v8, v14, v8, s[30:31]
	v_cmp_lt_i32_e64 s[34:35], -1, v15
	v_mul_lo_u32 v15, s86, v11
	v_sub_u32_e32 v38, 0, v9
	v_mul_hi_u32 v12, v8, s70
	v_sub_u32_e32 v7, v7, v15
	v_and_b32_e32 v39, v41, v10
	v_cndmask_b32_e64 v9, v38, v9, s[34:35]
	v_mul_lo_u32 v38, s86, v12
	v_cmp_le_u32_e64 s[38:39], s86, v7
	v_sub_u32_e32 v52, 0, v10
	v_cmp_lt_i32_e64 s[36:37], -1, v39
	v_mul_hi_u32 v13, v9, s70
	v_sub_u32_e32 v8, v8, v38
	v_addc_co_u32_e64 v7, s[38:39], 0, v11, s[38:39]
	v_cndmask_b32_e64 v10, v52, v10, s[36:37]
	v_mul_lo_u32 v39, s86, v13
	v_cmp_le_u32_e64 s[38:39], s86, v8
	v_mul_hi_u32 v14, v10, s70
	v_sub_u32_e32 v9, v9, v39
	v_addc_co_u32_e64 v11, s[38:39], 0, v12, s[38:39]
	v_mul_lo_u32 v52, s86, v14
	v_cmp_le_u32_e64 s[38:39], s86, v9
	v_sub_u32_e32 v10, v10, v52
	v_addc_co_u32_e64 v12, s[38:39], 0, v13, s[38:39]
	v_cmp_le_u32_e64 s[38:39], s86, v10
	v_addc_co_u32_e64 v13, s[38:39], 0, v14, s[38:39]
	v_sub_u32_e32 v8, 0, v7
	v_sub_u32_e32 v9, 0, v11
	;; [unrolled: 1-line block ×4, first 2 shown]
	v_cndmask_b32_e32 v8, v8, v7, vcc
	v_cndmask_b32_e64 v9, v9, v11, s[30:31]
	v_cndmask_b32_e64 v10, v10, v12, s[34:35]
	;; [unrolled: 1-line block ×3, first 2 shown]
	s_mov_b64 s[38:39], 0
.LBB4_578:                              ;   Parent Loop BB4_47 Depth=1
                                        ;     Parent Loop BB4_496 Depth=2
                                        ;       Parent Loop BB4_577 Depth=3
                                        ; =>      This Inner Loop Header: Depth=4
	s_cmp_eq_u32 s38, 0
	s_cselect_b64 s[30:31], -1, 0
	s_cmp_eq_u32 s38, 1
	s_cselect_b64 s[36:37], -1, 0
	v_cndmask_b32_e64 v7, 0, 1, s[68:69]
	v_cndmask_b32_e64 v12, v4, v16, s[36:37]
	v_cmp_ne_u32_e64 s[34:35], 1, v7
	v_cndmask_b32_e64 v13, v5, v17, s[36:37]
	v_add_co_u32_e32 v7, vcc, 0x400, v12
	global_store_dwordx4 v[12:13], v[8:11], off glc slc
	v_addc_co_u32_e32 v12, vcc, 0, v13, vcc
	s_mov_b64 s[68:69], 0
	s_mov_b64 s[38:39], 1
	v_cndmask_b32_e64 v16, v16, v7, s[36:37]
	s_and_b64 vcc, exec, s[34:35]
	v_cndmask_b32_e64 v17, v17, v12, s[36:37]
	v_cndmask_b32_e64 v5, v5, v12, s[30:31]
	;; [unrolled: 1-line block ×3, first 2 shown]
	s_cbranch_vccz .LBB4_578
; %bb.579:                              ;   in Loop: Header=BB4_577 Depth=3
	v_add_co_u32_e32 v18, vcc, v18, v31
	v_addc_co_u32_e32 v19, vcc, v19, v1, vcc
	v_add_co_u32_e32 v20, vcc, v20, v31
	v_addc_co_u32_e32 v21, vcc, v21, v1, vcc
	v_add_co_u32_e32 v4, vcc, v4, v54
	v_accvgpr_read_b32 v7, a21
	v_addc_co_u32_e32 v5, vcc, v5, v7, vcc
	v_add_co_u32_e32 v16, vcc, v16, v54
	v_addc_co_u32_e32 v17, vcc, v17, v7, vcc
	v_sub_u32_e32 v56, v56, v61
	v_cmp_gt_i32_e32 vcc, 16, v56
	s_or_b64 s[44:45], vcc, s[44:45]
	v_sub_u32_e32 v25, v25, v36
	s_andn2_b64 exec, exec, s[44:45]
	s_cbranch_execnz .LBB4_577
; %bb.580:                              ;   in Loop: Header=BB4_496 Depth=2
	s_or_b64 exec, exec, s[44:45]
	v_accvgpr_read_b32 v39, a17
	v_accvgpr_read_b32 v18, a18
	;; [unrolled: 1-line block ×4, first 2 shown]
.LBB4_581:                              ;   in Loop: Header=BB4_496 Depth=2
	s_or_b64 exec, exec, s[42:43]
	v_and_b32_e32 v5, 12, v29
	v_cndmask_b32_e64 v15, v53, v5, s[28:29]
	v_cmp_ne_u32_e32 vcc, 0, v15
	s_mov_b64 s[30:31], s[66:67]
                                        ; implicit-def: $vgpr14
                                        ; implicit-def: $vgpr16
                                        ; implicit-def: $vgpr4
	s_and_saveexec_b64 s[34:35], vcc
	s_cbranch_execz .LBB4_583
; %bb.582:                              ;   in Loop: Header=BB4_496 Depth=2
	v_sub_u32_e32 v4, v53, v5
	v_cndmask_b32_e64 v4, 0, v4, s[28:29]
	v_cmp_lt_i32_e32 vcc, 0, v25
	v_add3_u32 v14, v24, v22, v4
	v_cndmask_b32_e32 v4, 0, v36, vcc
	v_sub_u32_e32 v4, v4, v25
	v_lshl_add_u32 v16, v4, 6, v23
	v_ashrrev_i32_e32 v4, 31, v16
	v_lshrrev_b32_e32 v4, 26, v4
	v_add_u32_e32 v4, v16, v4
	v_ashrrev_i32_e32 v4, 6, v4
	s_or_b64 s[30:31], s[66:67], exec
.LBB4_583:                              ;   in Loop: Header=BB4_496 Depth=2
	s_or_b64 exec, exec, s[34:35]
	s_andn2_b64 s[28:29], s[66:67], exec
	s_and_b64 vcc, s[30:31], exec
	s_or_b64 s[66:67], s[28:29], vcc
.LBB4_584:                              ;   in Loop: Header=BB4_496 Depth=2
	s_or_b64 exec, exec, s[40:41]
	v_accvgpr_read_b32 v53, a21
	s_and_saveexec_b64 s[36:37], s[66:67]
	s_cbranch_execnz .LBB4_593
	s_branch .LBB4_604
.LBB4_585:                              ;   in Loop: Header=BB4_496 Depth=2
	s_and_saveexec_b64 s[28:29], s[10:11]
	s_cbranch_execnz .LBB4_637
.LBB4_586:                              ;   in Loop: Header=BB4_496 Depth=2
	s_or_b64 exec, exec, s[28:29]
                                        ; implicit-def: $vgpr4
	s_and_saveexec_b64 s[28:29], s[24:25]
	s_xor_b64 s[30:31], exec, s[28:29]
	s_cbranch_execz .LBB4_655
.LBB4_587:                              ;   in Loop: Header=BB4_496 Depth=2
	v_cmp_lt_i32_e32 vcc, 0, v3
	v_and_b32_e32 v3, 16, v62
	v_cmp_ne_u32_e64 s[28:29], 0, v3
	v_and_b32_e32 v4, 16, v62
	s_and_b64 vcc, s[28:29], vcc
	s_and_saveexec_b64 s[28:29], vcc
	s_cbranch_execz .LBB4_589
; %bb.588:                              ;   in Loop: Header=BB4_496 Depth=2
	v_mov_b32_e32 v4, 1
	s_waitcnt vmcnt(0) lgkmcnt(0)
	buffer_wbinvl1_vol
.LBB4_589:                              ;   in Loop: Header=BB4_496 Depth=2
	s_or_b64 exec, exec, s[28:29]
	s_andn2_saveexec_b64 s[28:29], s[30:31]
	s_cbranch_execz .LBB4_674
	s_branch .LBB4_656
.LBB4_590:                              ;   in Loop: Header=BB4_496 Depth=2
	s_cbranch_execnz .LBB4_605
	s_branch .LBB4_636
.LBB4_591:                              ;   in Loop: Header=BB4_496 Depth=2
	s_mov_b64 s[66:67], 0
                                        ; implicit-def: $sgpr30
                                        ; implicit-def: $vgpr41
                                        ; implicit-def: $sgpr86
	s_andn2_b64 vcc, exec, s[28:29]
	s_cbranch_vccz .LBB4_570
.LBB4_592:                              ;   in Loop: Header=BB4_496 Depth=2
	v_mov_b32_e32 v14, s30
	v_mov_b32_e32 v15, v29
	;; [unrolled: 1-line block ×4, first 2 shown]
	s_and_saveexec_b64 s[36:37], s[66:67]
	s_cbranch_execz .LBB4_604
.LBB4_593:                              ;   in Loop: Header=BB4_496 Depth=2
	v_ashrrev_i32_e32 v5, 31, v15
	v_lshrrev_b32_e32 v5, 23, v5
	v_add_u32_e32 v5, v15, v5
	v_ashrrev_i32_e32 v19, 9, v5
	v_sub_u32_e32 v17, v19, v4
	v_ashrrev_i32_e32 v5, 31, v16
	v_cmp_lt_i32_e32 vcc, 0, v17
	v_lshrrev_b32_e32 v18, 26, v5
	s_and_saveexec_b64 s[34:35], vcc
	s_cbranch_execz .LBB4_597
; %bb.594:                              ;   in Loop: Header=BB4_496 Depth=2
	v_cvt_f32_u32_e32 v5, s86
	s_sub_i32 s28, 0, s86
	s_trap 2
	v_add_u32_e32 v7, v16, v18
	v_rcp_iflag_f32_e32 v5, v5
	ds_read_b128 v[8:11], v0
	v_and_b32_e32 v7, 0x3fffffc0, v7
	v_sub_u32_e32 v7, v16, v7
	v_mul_f32_e32 v5, 0x4f7ffffe, v5
	v_cvt_u32_f32_e32 v5, v5
	v_lshlrev_b32_e32 v7, 2, v7
	v_lshlrev_b32_e32 v4, 9, v4
	v_add3_u32 v7, v7, v14, v4
	v_readfirstlane_b32 s29, v5
	s_mul_i32 s28, s28, s29
	s_mul_hi_u32 s28, s29, s28
	s_add_i32 s29, s29, s28
	s_mul_hi_u32 s28, s29, -1
	s_mul_i32 s29, s28, s86
	s_not_b32 s29, s29
	s_add_i32 vcc_lo, s28, 1
	s_sub_i32 vcc_hi, s29, s86
	s_cmp_ge_u32 s29, s86
	s_cselect_b32 s28, vcc_lo, s28
	s_cselect_b32 s29, vcc_hi, s29
	s_add_i32 vcc_lo, s28, 1
	s_cmp_ge_u32 s29, s86
	s_cselect_b32 s40, vcc_lo, s28
	v_ashrrev_i32_e32 v12, 31, v7
	s_waitcnt lgkmcnt(0)
	v_add_co_u32_e32 v4, vcc, v8, v7
	v_addc_co_u32_e32 v5, vcc, v9, v12, vcc
	v_add_co_u32_e32 v8, vcc, v10, v7
	v_addc_co_u32_e32 v9, vcc, v11, v12, vcc
	s_mov_b64 s[38:39], 0
	v_pk_mov_b32 v[10:11], v[4:5], v[4:5] op_sel:[0,1]
	v_pk_mov_b32 v[12:13], v[8:9], v[8:9] op_sel:[0,1]
.LBB4_595:                              ;   Parent Loop BB4_47 Depth=1
                                        ;     Parent Loop BB4_496 Depth=2
                                        ; =>    This Inner Loop Header: Depth=3
	flat_load_dword v7, v[4:5] glc slc
	flat_load_dword v20, v[4:5] offset:256 glc slc
	flat_load_dword v21, v[8:9] glc slc
	flat_load_dword v22, v[8:9] offset:256 glc slc
	v_add_co_u32_e32 v4, vcc, v4, v26
	v_addc_co_u32_e32 v5, vcc, v5, v27, vcc
	v_add_co_u32_e32 v8, vcc, v8, v26
	v_addc_co_u32_e32 v9, vcc, v9, v27, vcc
	v_sub_u32_e32 v17, v17, v36
	v_cmp_gt_i32_e32 vcc, 1, v17
	s_or_b64 s[38:39], vcc, s[38:39]
	s_waitcnt vmcnt(0) lgkmcnt(0)
	v_add_u32_e32 v7, v21, v7
	v_and_b32_e32 v21, v7, v41
	v_add_u32_e32 v20, v22, v20
	v_sub_u32_e32 v22, 0, v7
	v_cmp_lt_i32_e32 vcc, -1, v21
	v_and_b32_e32 v23, v20, v41
	v_cndmask_b32_e32 v7, v22, v7, vcc
	v_sub_u32_e32 v24, 0, v20
	v_cmp_lt_i32_e64 s[28:29], -1, v23
	v_mul_hi_u32 v21, v7, s40
	v_cndmask_b32_e64 v20, v24, v20, s[28:29]
	v_mul_lo_u32 v23, s86, v21
	v_mul_hi_u32 v22, v20, s40
	v_sub_u32_e32 v7, v7, v23
	v_mul_lo_u32 v24, s86, v22
	v_cmp_le_u32_e64 s[30:31], s86, v7
	v_sub_u32_e32 v20, v20, v24
	v_addc_co_u32_e64 v7, s[30:31], 0, v21, s[30:31]
	v_cmp_le_u32_e64 s[30:31], s86, v20
	v_addc_co_u32_e64 v20, s[30:31], 0, v22, s[30:31]
	v_sub_u32_e32 v21, 0, v7
	v_sub_u32_e32 v22, 0, v20
	v_cndmask_b32_e32 v7, v21, v7, vcc
	v_cndmask_b32_e64 v20, v22, v20, s[28:29]
	flat_store_dword v[10:11], v7 glc slc
	flat_store_dword v[10:11], v20 offset:256 glc slc
	flat_store_dword v[12:13], v7 glc slc
	flat_store_dword v[12:13], v20 offset:256 glc slc
	v_add_co_u32_e32 v10, vcc, v10, v26
	v_addc_co_u32_e32 v11, vcc, v11, v27, vcc
	v_add_co_u32_e32 v12, vcc, v12, v26
	v_addc_co_u32_e32 v13, vcc, v13, v27, vcc
	s_andn2_b64 exec, exec, s[38:39]
	s_cbranch_execnz .LBB4_595
; %bb.596:                              ;   in Loop: Header=BB4_496 Depth=2
	s_or_b64 exec, exec, s[38:39]
.LBB4_597:                              ;   in Loop: Header=BB4_496 Depth=2
	s_or_b64 exec, exec, s[34:35]
	v_lshlrev_b32_e32 v4, 9, v19
	v_cmp_ne_u32_e32 vcc, v15, v4
	s_and_saveexec_b64 s[38:39], vcc
	s_cbranch_execz .LBB4_603
; %bb.598:                              ;   in Loop: Header=BB4_496 Depth=2
	v_add_u32_e32 v5, v16, v18
	v_and_b32_e32 v5, 0xffffffc0, v5
	v_sub_u32_e32 v5, v16, v5
	v_lshlrev_b32_e32 v7, 6, v17
	v_sub_u32_e32 v5, v5, v7
	v_ashrrev_i32_e32 v7, 31, v5
	v_lshrrev_b32_e32 v7, 26, v7
	v_add_u32_e32 v7, v5, v7
	v_and_b32_e32 v8, 0x3fffffc0, v7
	v_sub_u32_e32 v5, v5, v8
	v_lshlrev_b32_e32 v7, 2, v7
	v_and_b32_e32 v7, 0xffffff00, v7
	v_lshlrev_b32_e32 v5, 2, v5
	v_add3_u32 v4, v7, v5, v4
	v_sub_u32_e32 v15, v15, v4
	v_cmp_lt_i32_e32 vcc, 3, v15
	s_and_b64 exec, exec, vcc
	s_cbranch_execz .LBB4_603
; %bb.599:                              ;   in Loop: Header=BB4_496 Depth=2
	v_cvt_f32_u32_e32 v5, s86
	v_add_u32_e32 v7, v4, v14
	s_sub_i32 s28, 0, s86
	s_trap 2
	v_rcp_iflag_f32_e32 v5, v5
	ds_read_b128 v[8:11], v0
	v_ashrrev_i32_e32 v12, 31, v7
	s_mov_b64 s[40:41], 0
	v_mul_f32_e32 v4, 0x4f7ffffe, v5
	v_cvt_u32_f32_e32 v4, v4
	v_readfirstlane_b32 s29, v4
	s_mul_i32 s28, s28, s29
	s_mul_hi_u32 s28, s29, s28
	s_add_i32 s29, s29, s28
	s_mul_hi_u32 s28, s29, -1
	s_mul_i32 s29, s28, s86
	s_not_b32 s29, s29
	s_add_i32 vcc_lo, s28, 1
	s_sub_i32 vcc_hi, s29, s86
	s_cmp_ge_u32 s29, s86
	s_cselect_b32 s28, vcc_lo, s28
	s_cselect_b32 s29, vcc_hi, s29
	s_add_i32 vcc_lo, s28, 1
	s_cmp_ge_u32 s29, s86
	s_cselect_b32 s66, vcc_lo, s28
	s_waitcnt lgkmcnt(0)
	v_add_co_u32_e32 v4, vcc, v8, v7
	v_addc_co_u32_e32 v5, vcc, v9, v12, vcc
	v_add_co_u32_e32 v8, vcc, v10, v7
	v_addc_co_u32_e32 v9, vcc, v11, v12, vcc
	v_pk_mov_b32 v[10:11], v[4:5], v[4:5] op_sel:[0,1]
	v_pk_mov_b32 v[12:13], v[8:9], v[8:9] op_sel:[0,1]
.LBB4_600:                              ;   Parent Loop BB4_47 Depth=1
                                        ;     Parent Loop BB4_496 Depth=2
                                        ; =>    This Loop Header: Depth=3
                                        ;         Child Loop BB4_601 Depth 4
	flat_load_dword v7, v[10:11] glc slc
	flat_load_dword v14, v[12:13] glc slc
	s_mov_b64 s[44:45], -1
	s_mov_b64 s[42:43], 0
	s_waitcnt vmcnt(0) lgkmcnt(0)
	v_add_u32_e32 v7, v14, v7
	v_and_b32_e32 v14, v7, v41
	v_sub_u32_e32 v16, 0, v7
	v_cmp_lt_i32_e32 vcc, -1, v14
	v_cndmask_b32_e32 v7, v16, v7, vcc
	v_mul_hi_u32 v14, v7, s66
	v_mul_lo_u32 v16, s86, v14
	v_sub_u32_e32 v7, v7, v16
	v_cmp_le_u32_e64 s[28:29], s86, v7
	v_addc_co_u32_e64 v7, s[28:29], 0, v14, s[28:29]
	v_sub_u32_e32 v14, 0, v7
	v_cndmask_b32_e32 v14, v14, v7, vcc
.LBB4_601:                              ;   Parent Loop BB4_47 Depth=1
                                        ;     Parent Loop BB4_496 Depth=2
                                        ;       Parent Loop BB4_600 Depth=3
                                        ; =>      This Inner Loop Header: Depth=4
	s_cmp_eq_u32 s42, 0
	s_cselect_b64 s[28:29], -1, 0
	s_cmp_eq_u32 s42, 1
	s_cselect_b64 s[34:35], -1, 0
	v_cndmask_b32_e64 v7, 0, 1, s[44:45]
	v_cndmask_b32_e64 v16, v4, v8, s[34:35]
	v_cmp_ne_u32_e64 s[30:31], 1, v7
	v_cndmask_b32_e64 v17, v5, v9, s[34:35]
	v_add_co_u32_e32 v7, vcc, 0x100, v16
	flat_store_dword v[16:17], v14 glc slc
	v_addc_co_u32_e32 v16, vcc, 0, v17, vcc
	s_mov_b64 s[44:45], 0
	s_mov_b64 s[42:43], 1
	v_cndmask_b32_e64 v8, v8, v7, s[34:35]
	s_and_b64 vcc, exec, s[30:31]
	v_cndmask_b32_e64 v9, v9, v16, s[34:35]
	v_cndmask_b32_e64 v5, v5, v16, s[28:29]
	;; [unrolled: 1-line block ×3, first 2 shown]
	s_cbranch_vccz .LBB4_601
; %bb.602:                              ;   in Loop: Header=BB4_600 Depth=3
	v_add_co_u32_e32 v10, vcc, v10, v42
	v_addc_co_u32_e32 v11, vcc, v11, v43, vcc
	v_add_co_u32_e32 v12, vcc, v12, v42
	v_addc_co_u32_e32 v13, vcc, v13, v43, vcc
	v_accvgpr_read_b32 v14, a24
	v_add_co_u32_e32 v4, vcc, v4, v14
	v_accvgpr_read_b32 v7, a23
	v_addc_co_u32_e32 v5, vcc, v5, v7, vcc
	v_sub_u32_e32 v15, v15, v37
	v_cmp_gt_i32_e32 vcc, 4, v15
	s_or_b64 s[40:41], vcc, s[40:41]
	v_add_co_u32_e32 v8, vcc, v8, v14
	v_addc_co_u32_e32 v9, vcc, v9, v7, vcc
	s_andn2_b64 exec, exec, s[40:41]
	s_cbranch_execnz .LBB4_600
.LBB4_603:                              ;   in Loop: Header=BB4_496 Depth=2
	s_or_b64 exec, exec, s[38:39]
	v_accvgpr_read_b32 v18, a18
	v_accvgpr_read_b32 v19, a19
.LBB4_604:                              ;   in Loop: Header=BB4_496 Depth=2
	s_or_b64 exec, exec, s[36:37]
	s_branch .LBB4_636
.LBB4_605:                              ;   in Loop: Header=BB4_496 Depth=2
	s_mov_b64 s[30:31], -1
	s_and_saveexec_b64 s[28:29], s[22:23]
	s_cbranch_execz .LBB4_607
; %bb.606:                              ;   in Loop: Header=BB4_496 Depth=2
	ds_read_b32 v4, v0 offset:720
	s_waitcnt lgkmcnt(0)
	v_and_b32_e32 v4, 15, v4
	v_cmp_eq_u32_e32 vcc, 0, v4
	s_orn2_b64 s[30:31], vcc, exec
.LBB4_607:                              ;   in Loop: Header=BB4_496 Depth=2
	s_or_b64 exec, exec, s[28:29]
	s_and_saveexec_b64 s[28:29], s[18:19]
	s_cbranch_execz .LBB4_609
; %bb.608:                              ;   in Loop: Header=BB4_496 Depth=2
	ds_read_b32 v4, v0 offset:784
	s_waitcnt lgkmcnt(0)
	v_and_b32_e32 v4, 15, v4
	v_cmp_eq_u32_e32 vcc, 0, v4
	s_and_b64 vcc, s[30:31], vcc
	s_andn2_b64 s[30:31], s[30:31], exec
	s_and_b64 vcc, vcc, exec
	s_or_b64 s[30:31], s[30:31], vcc
.LBB4_609:                              ;   in Loop: Header=BB4_496 Depth=2
	s_or_b64 exec, exec, s[28:29]
	s_xor_b64 vcc, s[30:31], -1
	v_cndmask_b32_e64 v4, 0, 1, vcc
	s_mov_b64 s[28:29], -1
	;;#ASMSTART
	;;#ASMEND
	v_cmp_ne_u32_e32 vcc, 0, v4
	v_alignbit_b32 v56, v40, v40, 1
	s_cbranch_vccz .LBB4_624
; %bb.610:                              ;   in Loop: Header=BB4_496 Depth=2
	v_alignbit_b32 v12, v40, v40, 1
	v_readfirstlane_b32 s28, v12
	s_and_b32 s86, s28, 0x7fffffff
	s_mov_b64 s[66:67], -1
	s_mov_b32 s30, 0
	s_cbranch_execnz .LBB4_625
.LBB4_611:                              ;   in Loop: Header=BB4_496 Depth=2
	v_ashrrev_i32_e32 v4, 31, v29
	v_lshrrev_b32_e32 v4, 21, v4
	v_add_u32_e32 v4, v29, v4
	v_ashrrev_i32_e32 v57, 11, v4
	v_readfirstlane_b32 s28, v56
	v_sub_u32_e32 v53, v57, v0
	s_and_b32 s86, s28, 0x7fffffff
	v_cmp_lt_i32_e32 vcc, 0, v53
	s_and_saveexec_b64 s[68:69], vcc
	s_cbranch_execz .LBB4_615
; %bb.612:                              ;   in Loop: Header=BB4_496 Depth=2
	v_cvt_f32_u32_e32 v4, s86
	s_sub_i32 s28, 0, s86
	s_trap 2
	ds_read_b128 v[8:11], v0
	ds_read_b64 v[12:13], v0
	v_rcp_iflag_f32_e32 v4, v4
	v_accvgpr_read_b32 v14, a26
	v_accvgpr_read_b32 v15, a27
	s_mov_b64 s[70:71], 0
	v_mul_f32_e32 v4, 0x4f7ffffe, v4
	v_cvt_u32_f32_e32 v4, v4
	v_readfirstlane_b32 s29, v4
	s_mul_i32 s28, s28, s29
	s_mul_hi_u32 s28, s29, s28
	s_add_i32 s29, s29, s28
	s_mul_hi_u32 s28, s29, -1
	s_mul_i32 s29, s28, s86
	s_not_b32 s29, s29
	s_add_i32 vcc_lo, s28, 1
	s_sub_i32 vcc_hi, s29, s86
	s_cmp_ge_u32 s29, s86
	s_cselect_b32 s28, vcc_lo, s28
	s_cselect_b32 s29, vcc_hi, s29
	s_add_i32 vcc_lo, s28, 1
	s_cmp_ge_u32 s29, s86
	s_cselect_b32 s87, vcc_lo, s28
	s_waitcnt lgkmcnt(0)
	v_add_co_u32_e32 v4, vcc, v8, v14
	v_addc_co_u32_e32 v5, vcc, v9, v15, vcc
	v_add_co_u32_e32 v40, vcc, v10, v14
	v_addc_co_u32_e32 v41, vcc, v11, v15, vcc
	;; [unrolled: 2-line block ×3, first 2 shown]
.LBB4_613:                              ;   Parent Loop BB4_47 Depth=1
                                        ;     Parent Loop BB4_496 Depth=2
                                        ; =>    This Inner Loop Header: Depth=3
	global_load_dwordx4 v[16:19], v[40:41], off glc slc
	global_load_dwordx4 v[20:23], v[4:5], off glc slc
	global_load_dwordx4 v[8:11], v[4:5], off offset:1024 glc slc
	global_load_dwordx4 v[12:15], v[40:41], off offset:1024 glc slc
	v_add_co_u32_e32 v4, vcc, v4, v58
	v_addc_co_u32_e32 v5, vcc, v5, v59, vcc
	v_add_co_u32_e32 v40, vcc, v40, v58
	v_addc_co_u32_e32 v41, vcc, v41, v59, vcc
	v_sub_u32_e32 v53, v53, v36
	v_cmp_gt_i32_e32 vcc, 1, v53
	s_or_b64 s[70:71], vcc, s[70:71]
	s_waitcnt vmcnt(0)
	v_add_u32_e32 v7, v16, v20
	v_add_co_u32_e32 v16, vcc, 0, v20
	v_addc_co_u32_e32 v16, vcc, v17, v21, vcc
	v_add_u32_e32 v17, v18, v22
	v_add_co_u32_e32 v18, vcc, 0, v22
	v_addc_co_u32_e32 v18, vcc, v19, v23, vcc
	;; [unrolled: 3-line block ×4, first 2 shown]
	v_and_b32_e32 v11, v56, v7
	v_sub_u32_e32 v13, 0, v7
	v_and_b32_e32 v14, v56, v16
	v_cmp_lt_i32_e32 vcc, -1, v11
	v_sub_u32_e32 v15, 0, v16
	v_cndmask_b32_e32 v7, v13, v7, vcc
	v_cmp_lt_i32_e64 s[28:29], -1, v14
	v_and_b32_e32 v23, v56, v12
	v_cndmask_b32_e64 v11, v15, v16, s[28:29]
	v_mul_hi_u32 v15, v7, s87
	v_and_b32_e32 v19, v56, v17
	v_cmp_lt_i32_e64 s[36:37], -1, v23
	v_mul_lo_u32 v23, s86, v15
	v_sub_u32_e32 v20, 0, v17
	v_sub_u32_e32 v38, 0, v12
	v_cmp_lt_i32_e64 s[30:31], -1, v19
	v_mul_hi_u32 v16, v11, s87
	v_sub_u32_e32 v7, v7, v23
	v_and_b32_e32 v21, v56, v18
	v_cndmask_b32_e64 v13, v20, v17, s[30:31]
	v_cndmask_b32_e64 v12, v38, v12, s[36:37]
	v_mul_lo_u32 v38, s86, v16
	v_cmp_le_u32_e64 s[44:45], s86, v7
	v_sub_u32_e32 v22, 0, v18
	v_and_b32_e32 v39, v56, v8
	v_cmp_lt_i32_e64 s[34:35], -1, v21
	v_mul_hi_u32 v17, v13, s87
	v_sub_u32_e32 v11, v11, v38
	v_addc_co_u32_e64 v7, s[44:45], 0, v15, s[44:45]
	v_cndmask_b32_e64 v14, v22, v18, s[34:35]
	v_cmp_lt_i32_e64 s[38:39], -1, v39
	v_mul_lo_u32 v39, s86, v17
	v_cmp_le_u32_e64 s[44:45], s86, v11
	v_sub_u32_e32 v52, 0, v8
	v_mul_hi_u32 v18, v14, s87
	v_sub_u32_e32 v13, v13, v39
	v_addc_co_u32_e64 v11, s[44:45], 0, v16, s[44:45]
	v_cndmask_b32_e64 v8, v52, v8, s[38:39]
	v_mul_lo_u32 v52, s86, v18
	v_cmp_le_u32_e64 s[44:45], s86, v13
	v_and_b32_e32 v54, v56, v9
	v_mul_hi_u32 v19, v12, s87
	v_sub_u32_e32 v14, v14, v52
	v_addc_co_u32_e64 v13, s[44:45], 0, v17, s[44:45]
	v_cmp_lt_i32_e64 s[40:41], -1, v54
	v_mul_lo_u32 v54, s86, v19
	v_cmp_le_u32_e64 s[44:45], s86, v14
	v_sub_u32_e32 v55, 0, v9
	v_mul_hi_u32 v20, v8, s87
	v_sub_u32_e32 v12, v12, v54
	v_addc_co_u32_e64 v14, s[44:45], 0, v18, s[44:45]
	v_and_b32_e32 v44, v56, v10
	v_cndmask_b32_e64 v9, v55, v9, s[40:41]
	v_mul_lo_u32 v55, s86, v20
	v_cmp_le_u32_e64 s[44:45], s86, v12
	v_sub_u32_e32 v45, 0, v10
	v_cmp_lt_i32_e64 s[42:43], -1, v44
	v_mul_hi_u32 v21, v9, s87
	v_sub_u32_e32 v8, v8, v55
	v_addc_co_u32_e64 v12, s[44:45], 0, v19, s[44:45]
	v_cndmask_b32_e64 v10, v45, v10, s[42:43]
	v_mul_lo_u32 v44, s86, v21
	v_cmp_le_u32_e64 s[44:45], s86, v8
	v_mul_hi_u32 v22, v10, s87
	v_sub_u32_e32 v9, v9, v44
	v_addc_co_u32_e64 v15, s[44:45], 0, v20, s[44:45]
	v_mul_lo_u32 v45, s86, v22
	v_cmp_le_u32_e64 s[44:45], s86, v9
	v_sub_u32_e32 v10, v10, v45
	v_addc_co_u32_e64 v16, s[44:45], 0, v21, s[44:45]
	v_cmp_le_u32_e64 s[44:45], s86, v10
	v_addc_co_u32_e64 v17, s[44:45], 0, v22, s[44:45]
	v_sub_u32_e32 v8, 0, v7
	v_sub_u32_e32 v9, 0, v11
	;; [unrolled: 1-line block ×8, first 2 shown]
	v_cndmask_b32_e32 v8, v8, v7, vcc
	v_cndmask_b32_e64 v9, v9, v11, s[28:29]
	v_cndmask_b32_e64 v10, v10, v13, s[30:31]
	;; [unrolled: 1-line block ×7, first 2 shown]
	global_store_dwordx4 v[24:25], v[8:11], off glc slc
	global_store_dwordx4 v[24:25], v[12:15], off offset:1024 glc slc
	v_add_co_u32_e32 v24, vcc, v24, v58
	v_addc_co_u32_e32 v25, vcc, v25, v59, vcc
	s_andn2_b64 exec, exec, s[70:71]
	s_cbranch_execnz .LBB4_613
; %bb.614:                              ;   in Loop: Header=BB4_496 Depth=2
	s_or_b64 exec, exec, s[70:71]
	v_accvgpr_read_b32 v45, a13
	v_accvgpr_read_b32 v39, a17
	;; [unrolled: 1-line block ×8, first 2 shown]
.LBB4_615:                              ;   in Loop: Header=BB4_496 Depth=2
	s_or_b64 exec, exec, s[68:69]
	v_lshlrev_b32_e32 v20, 11, v57
	v_cmp_ne_u32_e32 vcc, v29, v20
                                        ; implicit-def: $vgpr13
                                        ; implicit-def: $vgpr14
                                        ; implicit-def: $vgpr12
                                        ; implicit-def: $vgpr4
	s_mov_b64 s[40:41], exec
	s_and_b64 s[28:29], s[40:41], vcc
	v_accvgpr_read_b32 v57, a25
	s_mov_b64 exec, s[28:29]
	s_cbranch_execz .LBB4_623
; %bb.616:                              ;   in Loop: Header=BB4_496 Depth=2
	v_lshlrev_b32_e32 v4, 6, v53
	v_sub_u32_e32 v4, v57, v4
	v_ashrrev_i32_e32 v7, 31, v4
	v_lshrrev_b32_e32 v7, 26, v7
	v_add_u32_e32 v7, v4, v7
	v_sub_u32_e32 v5, v29, v20
	v_ashrrev_i32_e32 v8, 6, v7
	v_and_b32_e32 v7, 0xffffffc0, v7
	v_sub_u32_e32 v21, v4, v7
	v_ashrrev_i32_e32 v7, 31, v5
	v_lshrrev_b32_e32 v7, 22, v7
	v_add_u32_e32 v7, v5, v7
	v_and_b32_e32 v22, 0xfffffc00, v7
	v_lshlrev_b32_e32 v4, 4, v21
	v_sub_u32_e32 v24, v5, v22
	v_lshl_add_u32 v4, v8, 10, v4
	v_ashrrev_i32_e32 v9, 10, v7
	v_cmp_lt_i32_e32 vcc, 15, v24
	v_sub_u32_e32 v25, v5, v4
	v_addc_co_u32_e64 v5, s[28:29], 0, v9, vcc
	v_sub_u32_e32 v23, v5, v8
	v_cmp_lt_i32_e64 s[28:29], 15, v25
	s_and_saveexec_b64 s[42:43], s[28:29]
	s_cbranch_execz .LBB4_620
; %bb.617:                              ;   in Loop: Header=BB4_496 Depth=2
	v_cvt_f32_u32_e32 v5, s86
	v_add_u32_e32 v7, v4, v20
	s_sub_i32 s28, 0, s86
	s_trap 2
	v_rcp_iflag_f32_e32 v5, v5
	ds_read_b128 v[8:11], v0
	ds_read_b64 v[12:13], v0
	v_ashrrev_i32_e32 v14, 31, v7
	s_mov_b64 s[44:45], 0
	v_mul_f32_e32 v4, 0x4f7ffffe, v5
	v_cvt_u32_f32_e32 v4, v4
	v_readfirstlane_b32 s29, v4
	s_mul_i32 s28, s28, s29
	s_mul_hi_u32 s28, s29, s28
	s_add_i32 s29, s29, s28
	s_mul_hi_u32 s28, s29, -1
	s_mul_i32 s29, s28, s86
	s_not_b32 s29, s29
	s_add_i32 s30, s28, 1
	s_sub_i32 s31, s29, s86
	s_cmp_ge_u32 s29, s86
	s_cselect_b32 s28, s30, s28
	s_cselect_b32 s29, s31, s29
	s_add_i32 s30, s28, 1
	s_cmp_ge_u32 s29, s86
	s_cselect_b32 s68, s30, s28
	s_waitcnt lgkmcnt(0)
	v_add_co_u32_e64 v4, s[28:29], v8, v7
	v_addc_co_u32_e64 v5, s[28:29], v9, v14, s[28:29]
	v_add_co_u32_e64 v16, s[28:29], v10, v7
	v_addc_co_u32_e64 v17, s[28:29], v11, v14, s[28:29]
	;; [unrolled: 2-line block ×3, first 2 shown]
.LBB4_618:                              ;   Parent Loop BB4_47 Depth=1
                                        ;     Parent Loop BB4_496 Depth=2
                                        ; =>    This Inner Loop Header: Depth=3
	global_load_dwordx4 v[8:11], v[4:5], off glc slc
	global_load_dwordx4 v[12:15], v[16:17], off glc slc
	v_add_co_u32_e64 v4, s[28:29], v4, v31
	v_addc_co_u32_e64 v5, s[28:29], v5, v1, s[28:29]
	v_add_co_u32_e64 v16, s[28:29], v16, v31
	v_addc_co_u32_e64 v17, s[28:29], v17, v1, s[28:29]
	v_sub_u32_e32 v25, v25, v61
	v_cmp_gt_i32_e64 s[28:29], 16, v25
	s_or_b64 s[44:45], s[28:29], s[44:45]
	v_sub_u32_e32 v23, v23, v36
	s_waitcnt vmcnt(0)
	v_add_u32_e32 v7, v12, v8
	v_add_co_u32_e64 v8, s[28:29], 0, v8
	v_addc_co_u32_e64 v8, s[28:29], v13, v9, s[28:29]
	v_add_u32_e32 v9, v14, v10
	v_add_co_u32_e64 v10, s[28:29], 0, v10
	v_addc_co_u32_e64 v10, s[28:29], v15, v11, s[28:29]
	v_and_b32_e32 v11, v56, v7
	v_sub_u32_e32 v12, 0, v7
	v_cmp_lt_i32_e64 s[28:29], -1, v11
	v_and_b32_e32 v13, v56, v8
	v_cndmask_b32_e64 v7, v12, v7, s[28:29]
	v_sub_u32_e32 v14, 0, v8
	v_and_b32_e32 v15, v56, v9
	v_cmp_lt_i32_e64 s[30:31], -1, v13
	v_mul_hi_u32 v11, v7, s68
	v_cndmask_b32_e64 v8, v14, v8, s[30:31]
	v_cmp_lt_i32_e64 s[34:35], -1, v15
	v_mul_lo_u32 v15, s86, v11
	v_sub_u32_e32 v38, 0, v9
	v_mul_hi_u32 v12, v8, s68
	v_sub_u32_e32 v7, v7, v15
	v_and_b32_e32 v39, v56, v10
	v_cndmask_b32_e64 v9, v38, v9, s[34:35]
	v_mul_lo_u32 v38, s86, v12
	v_cmp_le_u32_e64 s[38:39], s86, v7
	v_sub_u32_e32 v52, 0, v10
	v_cmp_lt_i32_e64 s[36:37], -1, v39
	v_mul_hi_u32 v13, v9, s68
	v_sub_u32_e32 v8, v8, v38
	v_addc_co_u32_e64 v7, s[38:39], 0, v11, s[38:39]
	v_cndmask_b32_e64 v10, v52, v10, s[36:37]
	v_mul_lo_u32 v39, s86, v13
	v_cmp_le_u32_e64 s[38:39], s86, v8
	v_mul_hi_u32 v14, v10, s68
	v_sub_u32_e32 v9, v9, v39
	v_addc_co_u32_e64 v11, s[38:39], 0, v12, s[38:39]
	v_mul_lo_u32 v52, s86, v14
	v_cmp_le_u32_e64 s[38:39], s86, v9
	v_sub_u32_e32 v10, v10, v52
	v_addc_co_u32_e64 v12, s[38:39], 0, v13, s[38:39]
	v_cmp_le_u32_e64 s[38:39], s86, v10
	v_addc_co_u32_e64 v13, s[38:39], 0, v14, s[38:39]
	v_sub_u32_e32 v8, 0, v7
	v_sub_u32_e32 v9, 0, v11
	;; [unrolled: 1-line block ×4, first 2 shown]
	v_cndmask_b32_e64 v8, v8, v7, s[28:29]
	v_cndmask_b32_e64 v9, v9, v11, s[30:31]
	;; [unrolled: 1-line block ×4, first 2 shown]
	global_store_dwordx4 v[18:19], v[8:11], off glc slc
	v_add_co_u32_e64 v18, s[28:29], v18, v31
	v_addc_co_u32_e64 v19, s[28:29], v19, v1, s[28:29]
	s_andn2_b64 exec, exec, s[44:45]
	s_cbranch_execnz .LBB4_618
; %bb.619:                              ;   in Loop: Header=BB4_496 Depth=2
	s_or_b64 exec, exec, s[44:45]
	v_accvgpr_read_b32 v39, a17
	v_accvgpr_read_b32 v18, a18
	v_accvgpr_read_b32 v38, a16
	v_accvgpr_read_b32 v19, a19
.LBB4_620:                              ;   in Loop: Header=BB4_496 Depth=2
	s_or_b64 exec, exec, s[42:43]
	v_and_b32_e32 v5, 12, v29
	v_cndmask_b32_e32 v29, v24, v5, vcc
	v_cmp_ne_u32_e64 s[28:29], 0, v29
	s_mov_b64 s[30:31], s[66:67]
                                        ; implicit-def: $vgpr13
                                        ; implicit-def: $vgpr14
                                        ; implicit-def: $vgpr4
	s_and_saveexec_b64 s[34:35], s[28:29]
	s_cbranch_execz .LBB4_622
; %bb.621:                              ;   in Loop: Header=BB4_496 Depth=2
	v_sub_u32_e32 v4, v24, v5
	v_cndmask_b32_e32 v4, 0, v4, vcc
	v_cmp_lt_i32_e32 vcc, 0, v23
	v_add3_u32 v13, v22, v20, v4
	v_cndmask_b32_e32 v4, 0, v36, vcc
	v_sub_u32_e32 v4, v4, v23
	v_lshl_add_u32 v14, v4, 6, v21
	v_ashrrev_i32_e32 v4, 31, v14
	v_lshrrev_b32_e32 v4, 26, v4
	v_add_u32_e32 v4, v14, v4
	v_ashrrev_i32_e32 v4, 6, v4
	s_or_b64 s[30:31], s[66:67], exec
.LBB4_622:                              ;   in Loop: Header=BB4_496 Depth=2
	s_or_b64 exec, exec, s[34:35]
	s_andn2_b64 s[28:29], s[66:67], exec
	s_and_b64 vcc, s[30:31], exec
	s_or_b64 s[66:67], s[28:29], vcc
	v_mov_b32_e32 v12, v56
.LBB4_623:                              ;   in Loop: Header=BB4_496 Depth=2
	s_or_b64 exec, exec, s[40:41]
	v_accvgpr_read_b32 v53, a21
	s_and_saveexec_b64 s[34:35], s[66:67]
	s_cbranch_execnz .LBB4_626
	s_branch .LBB4_635
.LBB4_624:                              ;   in Loop: Header=BB4_496 Depth=2
	s_mov_b64 s[66:67], 0
                                        ; implicit-def: $sgpr30
                                        ; implicit-def: $vgpr12
                                        ; implicit-def: $sgpr86
	s_andn2_b64 vcc, exec, s[28:29]
	s_cbranch_vccz .LBB4_611
.LBB4_625:                              ;   in Loop: Header=BB4_496 Depth=2
	v_mov_b32_e32 v13, s30
	v_mov_b32_e32 v14, v60
	;; [unrolled: 1-line block ×3, first 2 shown]
	s_and_saveexec_b64 s[34:35], s[66:67]
	s_cbranch_execz .LBB4_635
.LBB4_626:                              ;   in Loop: Header=BB4_496 Depth=2
	v_ashrrev_i32_e32 v5, 31, v29
	v_lshrrev_b32_e32 v5, 23, v5
	v_add_u32_e32 v5, v29, v5
	v_ashrrev_i32_e32 v16, 9, v5
	v_sub_u32_e32 v15, v16, v4
	v_cmp_lt_i32_e32 vcc, 0, v15
	s_and_saveexec_b64 s[36:37], vcc
	s_cbranch_execz .LBB4_630
; %bb.627:                              ;   in Loop: Header=BB4_496 Depth=2
	v_cvt_f32_u32_e32 v5, s86
	s_sub_i32 s28, 0, s86
	v_ashrrev_i32_e32 v7, 31, v14
	v_lshrrev_b32_e32 v7, 26, v7
	v_rcp_iflag_f32_e32 v5, v5
	s_trap 2
	v_add_u32_e32 v7, v14, v7
	ds_read_b128 v[8:11], v0
	ds_read_b64 v[18:19], v0
	v_mul_f32_e32 v5, 0x4f7ffffe, v5
	v_cvt_u32_f32_e32 v5, v5
	v_and_b32_e32 v7, 0x3fffffc0, v7
	v_sub_u32_e32 v7, v14, v7
	v_lshlrev_b32_e32 v4, 9, v4
	v_readfirstlane_b32 s29, v5
	s_mul_i32 s28, s28, s29
	s_mul_hi_u32 s28, s29, s28
	s_add_i32 s29, s29, s28
	s_mul_hi_u32 s28, s29, -1
	s_mul_i32 s29, s28, s86
	s_not_b32 s29, s29
	s_add_i32 vcc_lo, s28, 1
	s_sub_i32 vcc_hi, s29, s86
	s_cmp_ge_u32 s29, s86
	s_cselect_b32 s28, vcc_lo, s28
	s_cselect_b32 s29, vcc_hi, s29
	s_add_i32 vcc_lo, s28, 1
	v_lshlrev_b32_e32 v5, 2, v7
	s_cmp_ge_u32 s29, s86
	v_add3_u32 v7, v5, v13, v4
	s_cselect_b32 s40, vcc_lo, s28
	v_ashrrev_i32_e32 v17, 31, v7
	s_waitcnt lgkmcnt(0)
	v_add_co_u32_e32 v4, vcc, v8, v7
	v_addc_co_u32_e32 v5, vcc, v9, v17, vcc
	v_add_co_u32_e32 v8, vcc, v10, v7
	v_addc_co_u32_e32 v9, vcc, v11, v17, vcc
	;; [unrolled: 2-line block ×3, first 2 shown]
	s_mov_b64 s[38:39], 0
.LBB4_628:                              ;   Parent Loop BB4_47 Depth=1
                                        ;     Parent Loop BB4_496 Depth=2
                                        ; =>    This Inner Loop Header: Depth=3
	flat_load_dword v7, v[4:5] glc slc
	flat_load_dword v17, v[4:5] offset:256 glc slc
	flat_load_dword v18, v[8:9] glc slc
	flat_load_dword v19, v[8:9] offset:256 glc slc
	v_add_co_u32_e32 v4, vcc, v4, v26
	v_addc_co_u32_e32 v5, vcc, v5, v27, vcc
	v_add_co_u32_e32 v8, vcc, v8, v26
	v_addc_co_u32_e32 v9, vcc, v9, v27, vcc
	v_sub_u32_e32 v15, v15, v36
	v_cmp_gt_i32_e32 vcc, 1, v15
	s_or_b64 s[38:39], vcc, s[38:39]
	s_waitcnt vmcnt(0) lgkmcnt(0)
	v_add_u32_e32 v7, v18, v7
	v_and_b32_e32 v18, v7, v12
	v_add_u32_e32 v17, v19, v17
	v_sub_u32_e32 v19, 0, v7
	v_cmp_lt_i32_e32 vcc, -1, v18
	v_and_b32_e32 v20, v17, v12
	v_cndmask_b32_e32 v7, v19, v7, vcc
	v_sub_u32_e32 v21, 0, v17
	v_cmp_lt_i32_e64 s[28:29], -1, v20
	v_mul_hi_u32 v18, v7, s40
	v_cndmask_b32_e64 v17, v21, v17, s[28:29]
	v_mul_lo_u32 v20, s86, v18
	v_mul_hi_u32 v19, v17, s40
	v_sub_u32_e32 v7, v7, v20
	v_mul_lo_u32 v21, s86, v19
	v_cmp_le_u32_e64 s[30:31], s86, v7
	v_sub_u32_e32 v17, v17, v21
	v_addc_co_u32_e64 v7, s[30:31], 0, v18, s[30:31]
	v_cmp_le_u32_e64 s[30:31], s86, v17
	v_addc_co_u32_e64 v17, s[30:31], 0, v19, s[30:31]
	v_sub_u32_e32 v18, 0, v7
	v_sub_u32_e32 v19, 0, v17
	v_cndmask_b32_e32 v7, v18, v7, vcc
	v_cndmask_b32_e64 v17, v19, v17, s[28:29]
	flat_store_dword v[10:11], v7 glc slc
	flat_store_dword v[10:11], v17 offset:256 glc slc
	v_add_co_u32_e32 v10, vcc, v10, v26
	v_addc_co_u32_e32 v11, vcc, v11, v27, vcc
	s_andn2_b64 exec, exec, s[38:39]
	s_cbranch_execnz .LBB4_628
; %bb.629:                              ;   in Loop: Header=BB4_496 Depth=2
	s_or_b64 exec, exec, s[38:39]
	v_accvgpr_read_b32 v18, a18
	v_accvgpr_read_b32 v19, a19
.LBB4_630:                              ;   in Loop: Header=BB4_496 Depth=2
	s_or_b64 exec, exec, s[36:37]
	v_lshlrev_b32_e32 v4, 9, v16
	v_cmp_ne_u32_e32 vcc, v29, v4
	s_and_saveexec_b64 s[30:31], vcc
	s_cbranch_execz .LBB4_634
; %bb.631:                              ;   in Loop: Header=BB4_496 Depth=2
	v_ashrrev_i32_e32 v5, 31, v14
	v_lshrrev_b32_e32 v5, 26, v5
	v_add_u32_e32 v5, v14, v5
	v_and_b32_e32 v5, 0xffffffc0, v5
	v_sub_u32_e32 v5, v14, v5
	v_lshlrev_b32_e32 v7, 6, v15
	v_sub_u32_e32 v5, v5, v7
	v_ashrrev_i32_e32 v7, 31, v5
	v_lshrrev_b32_e32 v7, 26, v7
	v_add_u32_e32 v7, v5, v7
	v_and_b32_e32 v8, 0x3fffffc0, v7
	v_sub_u32_e32 v5, v5, v8
	v_lshlrev_b32_e32 v7, 2, v7
	v_and_b32_e32 v7, 0xffffff00, v7
	v_lshlrev_b32_e32 v5, 2, v5
	v_add3_u32 v4, v7, v5, v4
	v_sub_u32_e32 v14, v29, v4
	v_cmp_lt_i32_e32 vcc, 3, v14
	s_and_b64 exec, exec, vcc
	s_cbranch_execz .LBB4_634
; %bb.632:                              ;   in Loop: Header=BB4_496 Depth=2
	v_cvt_f32_u32_e32 v5, s86
	v_add_u32_e32 v7, v4, v13
	s_sub_i32 s28, 0, s86
	s_trap 2
	v_rcp_iflag_f32_e32 v5, v5
	ds_read_b128 v[8:11], v0
	ds_read_b64 v[16:17], v0
	v_ashrrev_i32_e32 v13, 31, v7
	s_mov_b64 s[36:37], 0
	v_mul_f32_e32 v4, 0x4f7ffffe, v5
	v_cvt_u32_f32_e32 v4, v4
	v_readfirstlane_b32 s29, v4
	s_mul_i32 s28, s28, s29
	s_mul_hi_u32 s28, s29, s28
	s_add_i32 s29, s29, s28
	s_mul_hi_u32 s28, s29, -1
	s_mul_i32 s29, s28, s86
	s_not_b32 s29, s29
	s_add_i32 vcc_lo, s28, 1
	s_sub_i32 vcc_hi, s29, s86
	s_cmp_ge_u32 s29, s86
	s_cselect_b32 s28, vcc_lo, s28
	s_cselect_b32 s29, vcc_hi, s29
	s_add_i32 vcc_lo, s28, 1
	s_cmp_ge_u32 s29, s86
	s_cselect_b32 s38, vcc_lo, s28
	s_waitcnt lgkmcnt(0)
	v_add_co_u32_e32 v4, vcc, v8, v7
	v_addc_co_u32_e32 v5, vcc, v9, v13, vcc
	v_add_co_u32_e32 v8, vcc, v10, v7
	v_addc_co_u32_e32 v9, vcc, v11, v13, vcc
	;; [unrolled: 2-line block ×3, first 2 shown]
.LBB4_633:                              ;   Parent Loop BB4_47 Depth=1
                                        ;     Parent Loop BB4_496 Depth=2
                                        ; =>    This Inner Loop Header: Depth=3
	flat_load_dword v7, v[4:5] glc slc
	flat_load_dword v13, v[8:9] glc slc
	v_add_co_u32_e32 v4, vcc, v4, v42
	v_addc_co_u32_e32 v5, vcc, v5, v43, vcc
	v_add_co_u32_e32 v8, vcc, v8, v42
	v_addc_co_u32_e32 v9, vcc, v9, v43, vcc
	v_sub_u32_e32 v14, v14, v37
	v_cmp_gt_i32_e32 vcc, 4, v14
	s_or_b64 s[36:37], vcc, s[36:37]
	s_waitcnt vmcnt(0) lgkmcnt(0)
	v_add_u32_e32 v7, v13, v7
	v_and_b32_e32 v13, v7, v12
	v_sub_u32_e32 v15, 0, v7
	v_cmp_lt_i32_e32 vcc, -1, v13
	v_cndmask_b32_e32 v7, v15, v7, vcc
	v_mul_hi_u32 v13, v7, s38
	v_mul_lo_u32 v15, s86, v13
	v_sub_u32_e32 v7, v7, v15
	v_cmp_le_u32_e64 s[28:29], s86, v7
	v_addc_co_u32_e64 v7, s[28:29], 0, v13, s[28:29]
	v_sub_u32_e32 v13, 0, v7
	v_cndmask_b32_e32 v7, v13, v7, vcc
	flat_store_dword v[10:11], v7 glc slc
	v_add_co_u32_e32 v10, vcc, v10, v42
	v_addc_co_u32_e32 v11, vcc, v11, v43, vcc
	s_andn2_b64 exec, exec, s[36:37]
	s_cbranch_execnz .LBB4_633
.LBB4_634:                              ;   in Loop: Header=BB4_496 Depth=2
	s_or_b64 exec, exec, s[30:31]
.LBB4_635:                              ;   in Loop: Header=BB4_496 Depth=2
	s_or_b64 exec, exec, s[34:35]
.LBB4_636:                              ;   in Loop: Header=BB4_496 Depth=2
	v_accvgpr_read_b32 v41, a15
	v_accvgpr_read_b32 v40, a14
	s_and_saveexec_b64 s[28:29], s[10:11]
	s_cbranch_execz .LBB4_586
.LBB4_637:                              ;   in Loop: Header=BB4_496 Depth=2
	s_and_saveexec_b64 vcc, s[52:53]
	s_xor_b64 s[30:31], exec, vcc
	s_cbranch_execz .LBB4_652
; %bb.638:                              ;   in Loop: Header=BB4_496 Depth=2
	s_and_saveexec_b64 s[34:35], s[16:17]
	s_cbranch_execz .LBB4_651
; %bb.639:                              ;   in Loop: Header=BB4_496 Depth=2
	s_mov_b64 s[38:39], exec
	v_mbcnt_lo_u32_b32 v4, s38, 0
	v_mbcnt_hi_u32_b32 v4, s39, v4
	v_cmp_eq_u32_e32 vcc, 0, v4
	s_waitcnt vmcnt(0) lgkmcnt(0)
	buffer_wbinvl1_vol
	s_and_saveexec_b64 s[36:37], vcc
	s_cbranch_execz .LBB4_641
; %bb.640:                              ;   in Loop: Header=BB4_496 Depth=2
	s_bcnt1_i32_b64 vcc_lo, s[38:39]
	v_mov_b32_e32 v4, vcc_lo
	v_mov_b32_e32 v5, v6
	ds_add_u64 v0, v[4:5]
	s_trap 2
.LBB4_641:                              ;   in Loop: Header=BB4_496 Depth=2
	s_or_b64 exec, exec, s[36:37]
	s_trap 2
	ds_read_b64 v[4:5], v0
	v_add_co_u32_e32 v48, vcc, v48, v36
	v_addc_co_u32_e32 v49, vcc, 0, v49, vcc
	s_waitcnt lgkmcnt(0)
	v_cmp_lt_u64_e32 vcc, v[4:5], v[48:49]
	s_and_saveexec_b64 s[36:37], vcc
	s_cbranch_execz .LBB4_650
; %bb.642:                              ;   in Loop: Header=BB4_496 Depth=2
	s_mov_b32 s68, 0
	s_mov_b64 s[38:39], 0
                                        ; implicit-def: $sgpr40_sgpr41
                                        ; implicit-def: $sgpr42_sgpr43
	s_branch .LBB4_644
.LBB4_643:                              ;   in Loop: Header=BB4_644 Depth=3
	s_or_b64 exec, exec, s[66:67]
	s_and_b64 vcc, exec, vcc
	s_or_b64 s[38:39], vcc, s[38:39]
	s_andn2_b64 vcc, s[40:41], exec
	s_and_b64 s[40:41], s[42:43], exec
	s_or_b64 s[40:41], vcc, s[40:41]
	s_andn2_b64 exec, exec, s[38:39]
	s_cbranch_execz .LBB4_648
.LBB4_644:                              ;   Parent Loop BB4_47 Depth=1
                                        ;     Parent Loop BB4_496 Depth=2
                                        ; =>    This Inner Loop Header: Depth=3
	s_add_i32 s68, s68, 1
	s_cmpk_lg_i32 s68, 0x2710
	s_cselect_b64 s[44:45], -1, 0
	s_and_b64 vcc, exec, s[44:45]
                                        ; implicit-def: $sgpr66_sgpr67
	s_cbranch_vccnz .LBB4_646
; %bb.645:                              ;   in Loop: Header=BB4_644 Depth=3
	s_trap 2
	ds_read_b64 v[4:5], v0
	s_andn2_b64 s[44:45], s[44:45], exec
	s_mov_b32 s68, 0
	s_mov_b64 s[66:67], -1
	s_waitcnt lgkmcnt(0)
	flat_load_dword v4, v[4:5] glc
	s_waitcnt vmcnt(0) lgkmcnt(0)
	buffer_invl2
	buffer_wbinvl1_vol
	v_cmp_eq_u32_e32 vcc, 0, v4
	s_and_b64 vcc, vcc, exec
	s_or_b64 s[44:45], s[44:45], vcc
.LBB4_646:                              ;   in Loop: Header=BB4_644 Depth=3
	s_andn2_b64 s[42:43], s[42:43], exec
	s_and_b64 s[66:67], s[66:67], exec
	s_mov_b64 vcc, -1
	s_or_b64 s[42:43], s[42:43], s[66:67]
	s_and_saveexec_b64 s[66:67], s[44:45]
	s_cbranch_execz .LBB4_643
; %bb.647:                              ;   in Loop: Header=BB4_644 Depth=3
	s_sleep 1
	s_trap 2
	ds_read_b64 v[4:5], v0
	s_andn2_b64 s[42:43], s[42:43], exec
	s_waitcnt lgkmcnt(0)
	v_cmp_ge_u64_e32 vcc, v[4:5], v[48:49]
	s_orn2_b64 vcc, vcc, exec
	s_branch .LBB4_643
.LBB4_648:                              ;   in Loop: Header=BB4_496 Depth=2
	s_or_b64 exec, exec, s[38:39]
	s_and_saveexec_b64 vcc, s[40:41]
	s_xor_b64 vcc, exec, vcc
	s_cbranch_execz .LBB4_650
; %bb.649:                              ;   in Loop: Header=BB4_496 Depth=2
	ds_write_b32 v0, v46
	s_trap 2
.LBB4_650:                              ;   in Loop: Header=BB4_496 Depth=2
	s_or_b64 exec, exec, s[36:37]
	;;#ASMSTART
	s_wakeup
	;;#ASMEND
.LBB4_651:                              ;   in Loop: Header=BB4_496 Depth=2
	s_or_b64 exec, exec, s[34:35]
.LBB4_652:                              ;   in Loop: Header=BB4_496 Depth=2
	s_andn2_saveexec_b64 vcc, s[30:31]
	s_cbranch_execz .LBB4_654
; %bb.653:                              ;   in Loop: Header=BB4_496 Depth=2
	s_waitcnt vmcnt(0) lgkmcnt(0)
	buffer_wbinvl1_vol
	s_barrier
.LBB4_654:                              ;   in Loop: Header=BB4_496 Depth=2
	s_or_b64 exec, exec, vcc
	s_or_b64 exec, exec, s[28:29]
                                        ; implicit-def: $vgpr4
	s_and_saveexec_b64 s[28:29], s[24:25]
	s_xor_b64 s[30:31], exec, s[28:29]
	s_cbranch_execnz .LBB4_587
.LBB4_655:                              ;   in Loop: Header=BB4_496 Depth=2
	s_andn2_saveexec_b64 s[28:29], s[30:31]
	s_cbranch_execz .LBB4_674
.LBB4_656:                              ;   in Loop: Header=BB4_496 Depth=2
	s_and_saveexec_b64 vcc, s[52:53]
	s_xor_b64 s[30:31], exec, vcc
	s_cbranch_execz .LBB4_671
; %bb.657:                              ;   in Loop: Header=BB4_496 Depth=2
	s_and_saveexec_b64 s[34:35], s[16:17]
	s_cbranch_execz .LBB4_670
; %bb.658:                              ;   in Loop: Header=BB4_496 Depth=2
	s_mov_b64 s[38:39], exec
	v_mbcnt_lo_u32_b32 v3, s38, 0
	v_mbcnt_hi_u32_b32 v3, s39, v3
	v_cmp_eq_u32_e32 vcc, 0, v3
	;;#ASMSTART
	s_waitcnt lgkmcnt(0) vmcnt(0)
	;;#ASMEND
	s_and_saveexec_b64 s[36:37], vcc
	s_cbranch_execz .LBB4_660
; %bb.659:                              ;   in Loop: Header=BB4_496 Depth=2
	s_bcnt1_i32_b64 vcc_lo, s[38:39]
	v_mov_b32_e32 v4, vcc_lo
	v_mov_b32_e32 v5, v6
	ds_add_u64 v0, v[4:5]
	s_trap 2
.LBB4_660:                              ;   in Loop: Header=BB4_496 Depth=2
	s_or_b64 exec, exec, s[36:37]
	s_trap 2
	ds_read_b64 v[4:5], v0
	v_add_co_u32_e32 v48, vcc, v48, v36
	v_addc_co_u32_e32 v49, vcc, 0, v49, vcc
	s_waitcnt lgkmcnt(0)
	v_cmp_lt_u64_e32 vcc, v[4:5], v[48:49]
	s_and_saveexec_b64 s[36:37], vcc
	s_cbranch_execz .LBB4_669
; %bb.661:                              ;   in Loop: Header=BB4_496 Depth=2
	s_mov_b32 s68, 0
	s_mov_b64 s[38:39], 0
                                        ; implicit-def: $sgpr40_sgpr41
                                        ; implicit-def: $sgpr42_sgpr43
	s_branch .LBB4_663
.LBB4_662:                              ;   in Loop: Header=BB4_663 Depth=3
	s_or_b64 exec, exec, s[66:67]
	s_and_b64 vcc, exec, vcc
	s_or_b64 s[38:39], vcc, s[38:39]
	s_andn2_b64 vcc, s[40:41], exec
	s_and_b64 s[40:41], s[42:43], exec
	s_or_b64 s[40:41], vcc, s[40:41]
	s_andn2_b64 exec, exec, s[38:39]
	s_cbranch_execz .LBB4_667
.LBB4_663:                              ;   Parent Loop BB4_47 Depth=1
                                        ;     Parent Loop BB4_496 Depth=2
                                        ; =>    This Inner Loop Header: Depth=3
	s_add_i32 s68, s68, 1
	s_cmpk_lg_i32 s68, 0x2710
	s_cselect_b64 s[44:45], -1, 0
	s_and_b64 vcc, exec, s[44:45]
                                        ; implicit-def: $sgpr66_sgpr67
	s_cbranch_vccnz .LBB4_665
; %bb.664:                              ;   in Loop: Header=BB4_663 Depth=3
	s_trap 2
	ds_read_b64 v[4:5], v0
	s_andn2_b64 s[44:45], s[44:45], exec
	s_mov_b32 s68, 0
	s_mov_b64 s[66:67], -1
	s_waitcnt vmcnt(0) lgkmcnt(0)
	flat_load_dword v3, v[4:5] glc
	s_waitcnt vmcnt(0) lgkmcnt(0)
	buffer_invl2
	buffer_wbinvl1_vol
	v_cmp_eq_u32_e32 vcc, 0, v3
	s_and_b64 vcc, vcc, exec
	s_or_b64 s[44:45], s[44:45], vcc
.LBB4_665:                              ;   in Loop: Header=BB4_663 Depth=3
	s_andn2_b64 s[42:43], s[42:43], exec
	s_and_b64 s[66:67], s[66:67], exec
	s_mov_b64 vcc, -1
	s_or_b64 s[42:43], s[42:43], s[66:67]
	s_and_saveexec_b64 s[66:67], s[44:45]
	s_cbranch_execz .LBB4_662
; %bb.666:                              ;   in Loop: Header=BB4_663 Depth=3
	s_sleep 1
	s_trap 2
	ds_read_b64 v[4:5], v0
	s_andn2_b64 s[42:43], s[42:43], exec
	s_waitcnt lgkmcnt(0)
	v_cmp_ge_u64_e32 vcc, v[4:5], v[48:49]
	s_orn2_b64 vcc, vcc, exec
	s_branch .LBB4_662
.LBB4_667:                              ;   in Loop: Header=BB4_496 Depth=2
	s_or_b64 exec, exec, s[38:39]
	s_and_saveexec_b64 vcc, s[40:41]
	s_xor_b64 vcc, exec, vcc
	s_cbranch_execz .LBB4_669
; %bb.668:                              ;   in Loop: Header=BB4_496 Depth=2
	ds_write_b32 v0, v46
	s_trap 2
.LBB4_669:                              ;   in Loop: Header=BB4_496 Depth=2
	s_or_b64 exec, exec, s[36:37]
	;;#ASMSTART
	s_wakeup
	;;#ASMEND
.LBB4_670:                              ;   in Loop: Header=BB4_496 Depth=2
	s_or_b64 exec, exec, s[34:35]
.LBB4_671:                              ;   in Loop: Header=BB4_496 Depth=2
	s_andn2_saveexec_b64 vcc, s[30:31]
	s_cbranch_execz .LBB4_673
; %bb.672:                              ;   in Loop: Header=BB4_496 Depth=2
	;;#ASMSTART
	s_waitcnt lgkmcnt(0) vmcnt(0)
	;;#ASMEND
	s_barrier
.LBB4_673:                              ;   in Loop: Header=BB4_496 Depth=2
	s_or_b64 exec, exec, vcc
	v_and_b32_e32 v4, 16, v62
.LBB4_674:                              ;   in Loop: Header=BB4_496 Depth=2
	s_or_b64 exec, exec, s[28:29]
	v_cmp_ne_u32_e32 vcc, 0, v4
	s_xor_b64 s[28:29], s[12:13], -1
	s_and_b64 vcc, vcc, s[28:29]
	s_and_saveexec_b64 s[28:29], vcc
	s_cbranch_execz .LBB4_676
; %bb.675:                              ;   in Loop: Header=BB4_496 Depth=2
	flat_store_dword v[38:39], v46
.LBB4_676:                              ;   in Loop: Header=BB4_496 Depth=2
	s_or_b64 exec, exec, s[28:29]
	v_and_b32_e32 v3, 48, v62
	v_cmp_ne_u32_e32 vcc, 0, v3
	s_and_saveexec_b64 s[28:29], vcc
	s_cbranch_execz .LBB4_495
; %bb.677:                              ;   in Loop: Header=BB4_496 Depth=2
	v_add_co_u32_e32 v32, vcc, 2, v32
	v_addc_co_u32_e32 v33, vcc, 0, v33, vcc
	flat_store_dwordx2 v[34:35], v[32:33]
	s_branch .LBB4_495
.LBB4_678:                              ;   in Loop: Header=BB4_47 Depth=1
	s_or_b64 exec, exec, s[60:61]
	v_cmp_gt_i32_e32 vcc, 2, v3
	s_and_saveexec_b64 s[30:31], vcc
	s_cbranch_execz .LBB4_754
.LBB4_679:                              ;   in Loop: Header=BB4_47 Depth=1
	v_cmp_eq_u32_e64 s[28:29], 0, v3
	s_mov_b64 s[34:35], 0
	s_branch .LBB4_681
.LBB4_680:                              ;   in Loop: Header=BB4_681 Depth=2
	s_or_b64 exec, exec, s[28:29]
	v_add_u32_e32 v28, v2, v28
	s_mov_b64 s[28:29], 0
	s_andn2_b64 exec, exec, s[34:35]
	s_cbranch_execz .LBB4_755
.LBB4_681:                              ;   Parent Loop BB4_47 Depth=1
                                        ; =>  This Loop Header: Depth=2
                                        ;       Child Loop BB4_687 Depth 3
                                        ;       Child Loop BB4_719 Depth 3
	;; [unrolled: 1-line block ×3, first 2 shown]
	v_and_b32_e32 v3, 12, v62
	s_mov_b64 s[38:39], -1
	v_cmp_ne_u32_e32 vcc, 0, v3
	s_and_saveexec_b64 s[36:37], vcc
	s_cbranch_execz .LBB4_693
; %bb.682:                              ;   in Loop: Header=BB4_681 Depth=2
	v_and_b32_e32 v4, 8, v62
	v_add_co_u32_e32 v10, vcc, v50, v4
	v_addc_co_u32_e32 v11, vcc, 0, v51, vcc
	v_add_co_u32_e32 v8, vcc, 2, v32
	v_addc_co_u32_e32 v9, vcc, 0, v33, vcc
	v_cmp_lt_u64_e32 vcc, v[10:11], v[8:9]
	v_mov_b32_e32 v3, 1
	s_and_saveexec_b64 s[38:39], vcc
	s_cbranch_execz .LBB4_692
; %bb.683:                              ;   in Loop: Header=BB4_681 Depth=2
	s_mov_b64 s[40:41], 0
	v_mov_b32_e32 v3, 0
                                        ; implicit-def: $sgpr42_sgpr43
	s_branch .LBB4_687
.LBB4_684:                              ;   in Loop: Header=BB4_687 Depth=3
	s_or_b64 exec, exec, s[64:65]
	v_mov_b32_e32 v5, 0
	s_orn2_b64 s[62:63], s[62:63], exec
.LBB4_685:                              ;   in Loop: Header=BB4_687 Depth=3
	s_or_b64 exec, exec, s[60:61]
	s_andn2_b64 vcc, s[42:43], exec
	s_and_b64 s[42:43], s[62:63], exec
	s_or_b64 s[42:43], vcc, s[42:43]
	v_mov_b32_e32 v3, v5
.LBB4_686:                              ;   in Loop: Header=BB4_687 Depth=3
	s_or_b64 exec, exec, s[44:45]
	s_waitcnt vmcnt(0) lgkmcnt(0)
	v_add_co_u32_e32 v10, vcc, v50, v4
	v_addc_co_u32_e32 v11, vcc, 0, v51, vcc
	v_cmp_ge_u64_e32 vcc, v[10:11], v[8:9]
	s_xor_b64 s[44:45], s[42:43], -1
	s_or_b64 vcc, s[44:45], vcc
	s_and_b64 vcc, exec, vcc
	s_or_b64 s[40:41], vcc, s[40:41]
	s_andn2_b64 exec, exec, s[40:41]
	s_cbranch_execz .LBB4_691
.LBB4_687:                              ;   Parent Loop BB4_47 Depth=1
                                        ;     Parent Loop BB4_681 Depth=2
                                        ; =>    This Inner Loop Header: Depth=3
	s_sleep 1
	flat_load_dwordx2 v[50:51], v[34:35] glc
	v_and_b32_e32 v5, 64, v62
	v_cmp_eq_u32_e32 vcc, 0, v5
	s_andn2_b64 s[42:43], s[42:43], exec
	s_and_saveexec_b64 s[44:45], vcc
	s_cbranch_execz .LBB4_686
; %bb.688:                              ;   in Loop: Header=BB4_687 Depth=3
	v_add_u32_e32 v5, 1, v3
	v_cmp_lt_i32_e32 vcc, s83, v3
	s_mov_b64 s[62:63], -1
	s_and_saveexec_b64 s[60:61], vcc
	s_cbranch_execz .LBB4_685
; %bb.689:                              ;   in Loop: Header=BB4_687 Depth=3
	s_trap 2
	ds_read_b64 v[10:11], v0
	s_waitcnt vmcnt(0) lgkmcnt(0)
	flat_load_dword v3, v[10:11] glc
	s_waitcnt vmcnt(0) lgkmcnt(0)
	buffer_invl2
	buffer_wbinvl1_vol
	v_cmp_ne_u32_e32 vcc, 0, v3
	s_and_saveexec_b64 s[64:65], vcc
	s_cbranch_execz .LBB4_684
; %bb.690:                              ;   in Loop: Header=BB4_687 Depth=3
	v_or_b32_e32 v62, 64, v62
	s_xor_b64 s[62:63], exec, -1
	ds_write_b32 v0, v3
	s_trap 2
	s_branch .LBB4_684
.LBB4_691:                              ;   in Loop: Header=BB4_681 Depth=2
	s_or_b64 exec, exec, s[40:41]
	v_and_b32_e32 v3, 12, v62
.LBB4_692:                              ;   in Loop: Header=BB4_681 Depth=2
	s_or_b64 exec, exec, s[38:39]
	v_cmp_eq_u32_e32 vcc, 0, v3
	s_orn2_b64 s[38:39], vcc, exec
	;;#ASMSTART
	s_wakeup
	;;#ASMEND
.LBB4_693:                              ;   in Loop: Header=BB4_681 Depth=2
	s_or_b64 exec, exec, s[36:37]
	s_xor_b64 s[28:29], s[28:29], -1
	s_and_b64 s[28:29], exec, s[28:29]
	s_or_b64 s[34:35], s[28:29], s[34:35]
	v_sub_u32_e32 v3, v55, v28
	s_xor_b64 s[28:29], s[38:39], -1
	v_min_i32_e32 v2, v2, v3
	s_and_saveexec_b64 s[36:37], s[28:29]
	s_cbranch_execz .LBB4_711
; %bb.694:                              ;   in Loop: Header=BB4_681 Depth=2
	v_and_b32_e32 v3, 0x108, v62
	v_cmp_ne_u32_e32 vcc, s84, v3
	v_and_b32_e32 v4, 7, v32
	s_and_saveexec_b64 s[28:29], vcc
	s_xor_b64 s[28:29], exec, s[28:29]
                                        ; implicit-def: $vgpr8_vgpr9
; %bb.695:                              ;   in Loop: Header=BB4_681 Depth=2
	v_mov_b32_e32 v9, v6
; %bb.696:                              ;   in Loop: Header=BB4_681 Depth=2
	s_andn2_saveexec_b64 s[28:29], s[28:29]
	s_cbranch_execz .LBB4_698
; %bb.697:                              ;   in Loop: Header=BB4_681 Depth=2
	v_ashrrev_i32_e32 v3, 31, v2
	v_mov_b32_e32 v9, v6
	v_mad_u64_u32 v[10:11], vcc, v4, 24, v[44:45]
	v_lshlrev_b64 v[12:13], 2, v[2:3]
	flat_store_dwordx2 v[10:11], v[12:13] offset:8
.LBB4_698:                              ;   in Loop: Header=BB4_681 Depth=2
	s_or_b64 exec, exec, s[28:29]
	v_and_b32_e32 v3, 0x100, v62
	v_cmp_ne_u32_e32 vcc, 0, v3
	s_mov_b64 s[28:29], -1
                                        ; implicit-def: $vgpr10_vgpr11
	s_and_saveexec_b64 s[38:39], vcc
	s_cbranch_execz .LBB4_702
; %bb.699:                              ;   in Loop: Header=BB4_681 Depth=2
	v_mad_u64_u32 v[12:13], s[28:29], v4, 24, v[44:45]
	v_mov_b32_e32 v8, v13
	v_mad_u64_u32 v[10:11], s[28:29], v9, 24, v[8:9]
	v_mov_b32_e32 v13, v10
	flat_load_dword v3, v[12:13]
                                        ; implicit-def: $vgpr10_vgpr11
	s_waitcnt vmcnt(0) lgkmcnt(0)
	v_cmp_ne_u32_e32 vcc, 1, v3
	v_cmp_eq_u32_e64 s[28:29], 1, v3
	s_and_saveexec_b64 s[40:41], s[28:29]
	s_cbranch_execz .LBB4_701
; %bb.700:                              ;   in Loop: Header=BB4_681 Depth=2
	flat_load_dword v10, v[12:13] offset:4 glc
	s_waitcnt vmcnt(0) lgkmcnt(0)
	v_ashrrev_i32_e32 v11, 31, v10
	v_lshrrev_b64 v[10:11], 2, v[10:11]
.LBB4_701:                              ;   in Loop: Header=BB4_681 Depth=2
	s_or_b64 exec, exec, s[40:41]
	s_orn2_b64 s[28:29], vcc, exec
.LBB4_702:                              ;   in Loop: Header=BB4_681 Depth=2
	s_or_b64 exec, exec, s[38:39]
	s_and_saveexec_b64 vcc, s[28:29]
; %bb.703:                              ;   in Loop: Header=BB4_681 Depth=2
	v_mul_lo_u32 v3, v9, v30
	v_mul_lo_u32 v5, v4, v47
	v_mad_u64_u32 v[10:11], s[28:29], v4, v30, 0
	v_add3_u32 v11, v11, v5, v3
; %bb.704:                              ;   in Loop: Header=BB4_681 Depth=2
	s_or_b64 exec, exec, vcc
	v_lshlrev_b64 v[4:5], 2, v[10:11]
	v_add_co_u32_e32 v4, vcc, v40, v4
	v_addc_co_u32_e32 v5, vcc, v41, v5, vcc
	v_and_b32_e32 v3, 0x2000, v62
	v_cmp_ne_u32_e32 vcc, 0, v3
	s_trap 2
	ds_write_b64 v0, v[4:5]
	s_and_saveexec_b64 s[28:29], vcc
	s_cbranch_execz .LBB4_706
; %bb.705:                              ;   in Loop: Header=BB4_681 Depth=2
	ds_read_b64 v[4:5], v0 offset:584
	s_waitcnt lgkmcnt(0)
	v_add_co_u32_e32 v4, vcc, 1, v4
	v_addc_co_u32_e32 v5, vcc, 0, v5, vcc
	ds_write_b64 v0, v[4:5] offset:584
.LBB4_706:                              ;   in Loop: Header=BB4_681 Depth=2
	s_or_b64 exec, exec, s[28:29]
	v_add_co_u32_e32 v32, vcc, 2, v32
	v_addc_co_u32_e32 v33, vcc, 0, v33, vcc
	s_or_b64 exec, exec, s[36:37]
	s_and_saveexec_b64 s[28:29], s[10:11]
	s_cbranch_execnz .LBB4_712
.LBB4_707:                              ;   in Loop: Header=BB4_681 Depth=2
	s_or_b64 exec, exec, s[28:29]
                                        ; implicit-def: $vgpr3
	s_and_saveexec_b64 s[28:29], s[24:25]
	s_xor_b64 s[28:29], exec, s[28:29]
	s_cbranch_execz .LBB4_730
.LBB4_708:                              ;   in Loop: Header=BB4_681 Depth=2
	s_trap 2
	ds_read_b32 v4, v0
	v_cmp_lt_i32_e32 vcc, 0, v2
	v_and_b32_e32 v5, 16, v62
	v_and_b32_e32 v3, 16, v62
	s_waitcnt lgkmcnt(0)
	v_readfirstlane_b32 s36, v4
	s_cmp_eq_u32 s36, 0
	s_cselect_b64 s[36:37], -1, 0
	s_and_b64 s[36:37], vcc, s[36:37]
	v_cmp_ne_u32_e32 vcc, 0, v5
	s_and_b64 s[36:37], vcc, s[36:37]
	s_and_saveexec_b64 vcc, s[36:37]
	s_cbranch_execz .LBB4_710
; %bb.709:                              ;   in Loop: Header=BB4_681 Depth=2
	v_mov_b32_e32 v3, 1
	s_waitcnt vmcnt(0)
	buffer_wbinvl1_vol
.LBB4_710:                              ;   in Loop: Header=BB4_681 Depth=2
	s_or_b64 exec, exec, vcc
	s_andn2_saveexec_b64 s[28:29], s[28:29]
	s_cbranch_execz .LBB4_749
	s_branch .LBB4_731
.LBB4_711:                              ;   in Loop: Header=BB4_681 Depth=2
	s_or_b64 exec, exec, s[36:37]
	s_and_saveexec_b64 s[28:29], s[10:11]
	s_cbranch_execz .LBB4_707
.LBB4_712:                              ;   in Loop: Header=BB4_681 Depth=2
	s_and_saveexec_b64 vcc, s[52:53]
	s_xor_b64 s[36:37], exec, vcc
	s_cbranch_execz .LBB4_727
; %bb.713:                              ;   in Loop: Header=BB4_681 Depth=2
	s_and_saveexec_b64 s[38:39], s[16:17]
	s_cbranch_execz .LBB4_726
; %bb.714:                              ;   in Loop: Header=BB4_681 Depth=2
	s_mov_b64 s[42:43], exec
	v_mbcnt_lo_u32_b32 v3, s42, 0
	v_mbcnt_hi_u32_b32 v3, s43, v3
	v_cmp_eq_u32_e32 vcc, 0, v3
	s_waitcnt vmcnt(0) lgkmcnt(0)
	buffer_wbinvl1_vol
	s_and_saveexec_b64 s[40:41], vcc
	s_cbranch_execz .LBB4_716
; %bb.715:                              ;   in Loop: Header=BB4_681 Depth=2
	s_bcnt1_i32_b64 vcc_lo, s[42:43]
	v_mov_b32_e32 v4, vcc_lo
	v_mov_b32_e32 v5, v6
	ds_add_u64 v0, v[4:5]
	s_trap 2
.LBB4_716:                              ;   in Loop: Header=BB4_681 Depth=2
	s_or_b64 exec, exec, s[40:41]
	s_trap 2
	ds_read_b64 v[4:5], v0
	v_add_co_u32_e32 v48, vcc, v48, v36
	v_addc_co_u32_e32 v49, vcc, 0, v49, vcc
	s_waitcnt lgkmcnt(0)
	v_cmp_lt_u64_e32 vcc, v[4:5], v[48:49]
	s_and_saveexec_b64 s[40:41], vcc
	s_cbranch_execz .LBB4_725
; %bb.717:                              ;   in Loop: Header=BB4_681 Depth=2
	s_mov_b32 s66, 0
	s_mov_b64 s[42:43], 0
                                        ; implicit-def: $sgpr44_sgpr45
                                        ; implicit-def: $sgpr60_sgpr61
	s_branch .LBB4_719
.LBB4_718:                              ;   in Loop: Header=BB4_719 Depth=3
	s_or_b64 exec, exec, s[64:65]
	s_and_b64 vcc, exec, vcc
	s_or_b64 s[42:43], vcc, s[42:43]
	s_andn2_b64 vcc, s[44:45], exec
	s_and_b64 s[44:45], s[60:61], exec
	s_or_b64 s[44:45], vcc, s[44:45]
	s_andn2_b64 exec, exec, s[42:43]
	s_cbranch_execz .LBB4_723
.LBB4_719:                              ;   Parent Loop BB4_47 Depth=1
                                        ;     Parent Loop BB4_681 Depth=2
                                        ; =>    This Inner Loop Header: Depth=3
	s_add_i32 s66, s66, 1
	s_cmpk_lg_i32 s66, 0x2710
	s_cselect_b64 s[62:63], -1, 0
	s_and_b64 vcc, exec, s[62:63]
                                        ; implicit-def: $sgpr64_sgpr65
	s_cbranch_vccnz .LBB4_721
; %bb.720:                              ;   in Loop: Header=BB4_719 Depth=3
	s_trap 2
	ds_read_b64 v[4:5], v0
	s_andn2_b64 s[62:63], s[62:63], exec
	s_mov_b32 s66, 0
	s_mov_b64 s[64:65], -1
	s_waitcnt lgkmcnt(0)
	flat_load_dword v3, v[4:5] glc
	s_waitcnt vmcnt(0) lgkmcnt(0)
	buffer_invl2
	buffer_wbinvl1_vol
	v_cmp_eq_u32_e32 vcc, 0, v3
	s_and_b64 vcc, vcc, exec
	s_or_b64 s[62:63], s[62:63], vcc
.LBB4_721:                              ;   in Loop: Header=BB4_719 Depth=3
	s_andn2_b64 s[60:61], s[60:61], exec
	s_and_b64 s[64:65], s[64:65], exec
	s_mov_b64 vcc, -1
	s_or_b64 s[60:61], s[60:61], s[64:65]
	s_and_saveexec_b64 s[64:65], s[62:63]
	s_cbranch_execz .LBB4_718
; %bb.722:                              ;   in Loop: Header=BB4_719 Depth=3
	s_sleep 1
	s_trap 2
	ds_read_b64 v[4:5], v0
	s_andn2_b64 s[60:61], s[60:61], exec
	s_waitcnt lgkmcnt(0)
	v_cmp_ge_u64_e32 vcc, v[4:5], v[48:49]
	s_orn2_b64 vcc, vcc, exec
	s_branch .LBB4_718
.LBB4_723:                              ;   in Loop: Header=BB4_681 Depth=2
	s_or_b64 exec, exec, s[42:43]
	s_and_saveexec_b64 vcc, s[44:45]
	s_xor_b64 vcc, exec, vcc
	s_cbranch_execz .LBB4_725
; %bb.724:                              ;   in Loop: Header=BB4_681 Depth=2
	ds_write_b32 v0, v46
	s_trap 2
.LBB4_725:                              ;   in Loop: Header=BB4_681 Depth=2
	s_or_b64 exec, exec, s[40:41]
	;;#ASMSTART
	s_wakeup
	;;#ASMEND
.LBB4_726:                              ;   in Loop: Header=BB4_681 Depth=2
	s_or_b64 exec, exec, s[38:39]
.LBB4_727:                              ;   in Loop: Header=BB4_681 Depth=2
	s_andn2_saveexec_b64 vcc, s[36:37]
	s_cbranch_execz .LBB4_729
; %bb.728:                              ;   in Loop: Header=BB4_681 Depth=2
	s_waitcnt vmcnt(0) lgkmcnt(0)
	buffer_wbinvl1_vol
	s_barrier
.LBB4_729:                              ;   in Loop: Header=BB4_681 Depth=2
	s_or_b64 exec, exec, vcc
	s_or_b64 exec, exec, s[28:29]
                                        ; implicit-def: $vgpr3
	s_and_saveexec_b64 s[28:29], s[24:25]
	s_xor_b64 s[28:29], exec, s[28:29]
	s_cbranch_execnz .LBB4_708
.LBB4_730:                              ;   in Loop: Header=BB4_681 Depth=2
	s_andn2_saveexec_b64 s[28:29], s[28:29]
	s_cbranch_execz .LBB4_749
.LBB4_731:                              ;   in Loop: Header=BB4_681 Depth=2
	s_and_saveexec_b64 vcc, s[52:53]
	s_xor_b64 s[36:37], exec, vcc
	s_cbranch_execz .LBB4_746
; %bb.732:                              ;   in Loop: Header=BB4_681 Depth=2
	s_and_saveexec_b64 s[38:39], s[16:17]
	s_cbranch_execz .LBB4_745
; %bb.733:                              ;   in Loop: Header=BB4_681 Depth=2
	s_mov_b64 s[42:43], exec
	v_mbcnt_lo_u32_b32 v3, s42, 0
	v_mbcnt_hi_u32_b32 v3, s43, v3
	v_cmp_eq_u32_e32 vcc, 0, v3
	;;#ASMSTART
	s_waitcnt lgkmcnt(0) vmcnt(0)
	;;#ASMEND
	s_and_saveexec_b64 s[40:41], vcc
	s_cbranch_execz .LBB4_735
; %bb.734:                              ;   in Loop: Header=BB4_681 Depth=2
	s_bcnt1_i32_b64 vcc_lo, s[42:43]
	v_mov_b32_e32 v4, vcc_lo
	v_mov_b32_e32 v5, v6
	ds_add_u64 v0, v[4:5]
	s_trap 2
.LBB4_735:                              ;   in Loop: Header=BB4_681 Depth=2
	s_or_b64 exec, exec, s[40:41]
	s_trap 2
	ds_read_b64 v[4:5], v0
	v_add_co_u32_e32 v48, vcc, v48, v36
	v_addc_co_u32_e32 v49, vcc, 0, v49, vcc
	s_waitcnt lgkmcnt(0)
	v_cmp_lt_u64_e32 vcc, v[4:5], v[48:49]
	s_and_saveexec_b64 s[40:41], vcc
	s_cbranch_execz .LBB4_744
; %bb.736:                              ;   in Loop: Header=BB4_681 Depth=2
	s_mov_b32 s66, 0
	s_mov_b64 s[42:43], 0
                                        ; implicit-def: $sgpr44_sgpr45
                                        ; implicit-def: $sgpr60_sgpr61
	s_branch .LBB4_738
.LBB4_737:                              ;   in Loop: Header=BB4_738 Depth=3
	s_or_b64 exec, exec, s[64:65]
	s_and_b64 vcc, exec, vcc
	s_or_b64 s[42:43], vcc, s[42:43]
	s_andn2_b64 vcc, s[44:45], exec
	s_and_b64 s[44:45], s[60:61], exec
	s_or_b64 s[44:45], vcc, s[44:45]
	s_andn2_b64 exec, exec, s[42:43]
	s_cbranch_execz .LBB4_742
.LBB4_738:                              ;   Parent Loop BB4_47 Depth=1
                                        ;     Parent Loop BB4_681 Depth=2
                                        ; =>    This Inner Loop Header: Depth=3
	s_add_i32 s66, s66, 1
	s_cmpk_lg_i32 s66, 0x2710
	s_cselect_b64 s[62:63], -1, 0
	s_and_b64 vcc, exec, s[62:63]
                                        ; implicit-def: $sgpr64_sgpr65
	s_cbranch_vccnz .LBB4_740
; %bb.739:                              ;   in Loop: Header=BB4_738 Depth=3
	s_trap 2
	ds_read_b64 v[4:5], v0
	s_andn2_b64 s[62:63], s[62:63], exec
	s_mov_b32 s66, 0
	s_mov_b64 s[64:65], -1
	s_waitcnt vmcnt(0) lgkmcnt(0)
	flat_load_dword v3, v[4:5] glc
	s_waitcnt vmcnt(0) lgkmcnt(0)
	buffer_invl2
	buffer_wbinvl1_vol
	v_cmp_eq_u32_e32 vcc, 0, v3
	s_and_b64 vcc, vcc, exec
	s_or_b64 s[62:63], s[62:63], vcc
.LBB4_740:                              ;   in Loop: Header=BB4_738 Depth=3
	s_andn2_b64 s[60:61], s[60:61], exec
	s_and_b64 s[64:65], s[64:65], exec
	s_mov_b64 vcc, -1
	s_or_b64 s[60:61], s[60:61], s[64:65]
	s_and_saveexec_b64 s[64:65], s[62:63]
	s_cbranch_execz .LBB4_737
; %bb.741:                              ;   in Loop: Header=BB4_738 Depth=3
	s_sleep 1
	s_trap 2
	ds_read_b64 v[4:5], v0
	s_andn2_b64 s[60:61], s[60:61], exec
	s_waitcnt lgkmcnt(0)
	v_cmp_ge_u64_e32 vcc, v[4:5], v[48:49]
	s_orn2_b64 vcc, vcc, exec
	s_branch .LBB4_737
.LBB4_742:                              ;   in Loop: Header=BB4_681 Depth=2
	s_or_b64 exec, exec, s[42:43]
	s_and_saveexec_b64 vcc, s[44:45]
	s_xor_b64 vcc, exec, vcc
	s_cbranch_execz .LBB4_744
; %bb.743:                              ;   in Loop: Header=BB4_681 Depth=2
	ds_write_b32 v0, v46
	s_trap 2
.LBB4_744:                              ;   in Loop: Header=BB4_681 Depth=2
	s_or_b64 exec, exec, s[40:41]
	;;#ASMSTART
	s_wakeup
	;;#ASMEND
.LBB4_745:                              ;   in Loop: Header=BB4_681 Depth=2
	s_or_b64 exec, exec, s[38:39]
.LBB4_746:                              ;   in Loop: Header=BB4_681 Depth=2
	s_andn2_saveexec_b64 vcc, s[36:37]
	s_cbranch_execz .LBB4_748
; %bb.747:                              ;   in Loop: Header=BB4_681 Depth=2
	;;#ASMSTART
	s_waitcnt lgkmcnt(0) vmcnt(0)
	;;#ASMEND
	s_barrier
.LBB4_748:                              ;   in Loop: Header=BB4_681 Depth=2
	s_or_b64 exec, exec, vcc
	v_and_b32_e32 v3, 16, v62
.LBB4_749:                              ;   in Loop: Header=BB4_681 Depth=2
	s_or_b64 exec, exec, s[28:29]
	v_cmp_ne_u32_e32 vcc, 0, v3
	s_xor_b64 s[28:29], s[12:13], -1
	s_and_b64 vcc, vcc, s[28:29]
	s_and_saveexec_b64 s[28:29], vcc
	s_cbranch_execz .LBB4_751
; %bb.750:                              ;   in Loop: Header=BB4_681 Depth=2
	flat_store_dword v[38:39], v46
.LBB4_751:                              ;   in Loop: Header=BB4_681 Depth=2
	s_or_b64 exec, exec, s[28:29]
	v_and_b32_e32 v3, 48, v62
	v_cmp_ne_u32_e32 vcc, 0, v3
	s_and_saveexec_b64 s[28:29], vcc
	s_cbranch_execz .LBB4_680
; %bb.752:                              ;   in Loop: Header=BB4_681 Depth=2
	v_add_co_u32_e32 v32, vcc, 2, v32
	v_addc_co_u32_e32 v33, vcc, 0, v33, vcc
	flat_store_dwordx2 v[34:35], v[32:33]
	s_branch .LBB4_680
.LBB4_753:                              ;   in Loop: Header=BB4_47 Depth=1
	s_or_b64 exec, exec, s[62:63]
	s_or_b64 exec, exec, s[60:61]
	v_cmp_gt_i32_e32 vcc, 2, v3
	s_and_saveexec_b64 s[30:31], vcc
	s_cbranch_execnz .LBB4_679
.LBB4_754:                              ;   in Loop: Header=BB4_47 Depth=1
	s_or_b64 exec, exec, s[30:31]
	s_and_b64 vcc, exec, s[26:27]
	s_cbranch_vccz .LBB4_756
	s_branch .LBB4_1016
.LBB4_755:                              ;   in Loop: Header=BB4_47 Depth=1
	s_or_b64 exec, exec, s[34:35]
	s_or_b64 exec, exec, s[30:31]
	s_and_b64 vcc, exec, s[26:27]
	s_cbranch_vccnz .LBB4_1016
.LBB4_756:                              ;   in Loop: Header=BB4_47 Depth=1
	v_accvgpr_read_b32 v28, a24
	s_mov_b32 s66, 1
.LBB4_757:                              ;   Parent Loop BB4_47 Depth=1
                                        ; =>  This Loop Header: Depth=2
                                        ;       Child Loop BB4_760 Depth 3
                                        ;         Child Loop BB4_768 Depth 4
                                        ;         Child Loop BB4_796 Depth 4
	;; [unrolled: 1-line block ×9, first 2 shown]
                                        ;           Child Loop BB4_856 Depth 5
                                        ;         Child Loop BB4_865 Depth 4
                                        ;         Child Loop BB4_870 Depth 4
                                        ;           Child Loop BB4_871 Depth 5
                                        ;         Child Loop BB4_843 Depth 4
                                        ;         Child Loop BB4_922 Depth 4
                                        ;       Child Loop BB4_940 Depth 3
                                        ;         Child Loop BB4_946 Depth 4
                                        ;         Child Loop BB4_978 Depth 4
	;; [unrolled: 1-line block ×3, first 2 shown]
	s_sub_i32 s26, s76, s66
	s_cmp_le_i32 s72, s26
	s_cselect_b32 s27, s72, 0
	s_sub_i32 s26, s26, s27
	v_accvgpr_read_b32 v8, a30
	s_ashr_i32 s27, s26, 31
	v_accvgpr_read_b32 v9, a31
	v_mul_lo_u32 v4, v8, s27
	v_mul_lo_u32 v5, v9, s26
	v_mad_u64_u32 v[2:3], s[26:27], v8, s26, 0
	v_add3_u32 v3, v3, v4, v5
	v_accvgpr_read_b32 v4, a32
	v_accvgpr_read_b32 v5, a33
	v_sub_co_u32_e32 v4, vcc, v4, v2
	v_subb_co_u32_e32 v5, vcc, v5, v3, vcc
	v_cmp_lt_i64_e32 vcc, v[8:9], v[4:5]
	v_cndmask_b32_e32 v4, v4, v8, vcc
	v_max_i32_e32 v20, 0, v4
	v_add_u32_e32 v5, 31, v20
	v_lshrrev_b32_e32 v5, 1, v5
	v_and_b32_e32 v5, 0x3ffffff0, v5
	v_cmp_lt_i32_e32 vcc, 0, v4
	v_max_i32_e32 v14, s79, v5
	s_and_b64 s[26:27], s[58:59], vcc
	v_mov_b32_e32 v4, 0
	v_mov_b32_e32 v16, 0
	s_and_saveexec_b64 s[36:37], s[26:27]
	s_cbranch_execz .LBB4_937
; %bb.758:                              ;   in Loop: Header=BB4_757 Depth=2
	v_accvgpr_read_b32 v4, a34
	v_accvgpr_read_b32 v5, a35
	v_add_co_u32_e32 v2, vcc, v2, v4
	v_addc_co_u32_e32 v3, vcc, v3, v5, vcc
	s_mov_b32 s67, 1
	s_mov_b64 s[40:41], -1
	s_mov_b64 s[38:39], 0
	v_mov_b32_e32 v16, 0
	v_lshlrev_b64 v[18:19], 2, v[2:3]
	s_branch .LBB4_760
.LBB4_759:                              ;   in Loop: Header=BB4_760 Depth=3
	s_or_b64 exec, exec, s[26:27]
	v_add_u32_e32 v16, v14, v16
	v_cmp_ge_i32_e32 vcc, v16, v20
	s_xor_b64 s[26:27], s[40:41], -1
	s_or_b64 s[26:27], s[26:27], vcc
	s_and_b64 s[26:27], exec, s[26:27]
	s_or_b64 s[38:39], s[26:27], s[38:39]
	s_mov_b64 s[40:41], 0
	v_mov_b32_e32 v4, s67
	s_mov_b32 s67, 2
	s_andn2_b64 exec, exec, s[38:39]
	s_cbranch_execz .LBB4_1012
.LBB4_760:                              ;   Parent Loop BB4_47 Depth=1
                                        ;     Parent Loop BB4_757 Depth=2
                                        ; =>    This Loop Header: Depth=3
                                        ;         Child Loop BB4_768 Depth 4
                                        ;         Child Loop BB4_796 Depth 4
	;; [unrolled: 1-line block ×9, first 2 shown]
                                        ;           Child Loop BB4_856 Depth 5
                                        ;         Child Loop BB4_865 Depth 4
                                        ;         Child Loop BB4_870 Depth 4
                                        ;           Child Loop BB4_871 Depth 5
                                        ;         Child Loop BB4_843 Depth 4
                                        ;         Child Loop BB4_922 Depth 4
	s_and_saveexec_b64 s[26:27], s[4:5]
	s_cbranch_execz .LBB4_762
; %bb.761:                              ;   in Loop: Header=BB4_760 Depth=3
	s_trap 2
	ds_read_b128 v[2:5], v0
	v_ashrrev_i32_e32 v17, 31, v16
	s_waitcnt lgkmcnt(0)
	v_add_co_u32_e32 v7, vcc, v2, v18
	v_addc_co_u32_e32 v9, vcc, v3, v19, vcc
	v_lshlrev_b64 v[2:3], 2, v[16:17]
	v_add_co_u32_e32 v8, vcc, v7, v2
	v_addc_co_u32_e32 v9, vcc, v9, v3, vcc
	v_add_co_u32_e32 v7, vcc, v4, v18
	ds_write_b64 v0, v[8:9]
	v_addc_co_u32_e32 v8, vcc, v5, v19, vcc
	v_add_co_u32_e32 v2, vcc, v7, v2
	v_addc_co_u32_e32 v3, vcc, v8, v3, vcc
	v_cmp_ne_u64_e32 vcc, 0, v[4:5]
	v_cndmask_b32_e32 v3, 0, v3, vcc
	v_cndmask_b32_e32 v2, 0, v2, vcc
	ds_write_b64 v0, v[2:3]
.LBB4_762:                              ;   in Loop: Header=BB4_760 Depth=3
	s_or_b64 exec, exec, s[26:27]
	v_and_b32_e32 v2, 12, v62
	v_cmp_ne_u32_e32 vcc, 0, v2
	s_mov_b64 s[28:29], -1
	s_and_saveexec_b64 s[26:27], vcc
	s_cbranch_execz .LBB4_774
; %bb.763:                              ;   in Loop: Header=BB4_760 Depth=3
	v_and_b32_e32 v2, 8, v62
	v_add_co_u32_e32 v8, vcc, v50, v2
	v_addc_co_u32_e32 v9, vcc, 0, v51, vcc
	v_add_co_u32_e32 v4, vcc, 2, v32
	v_addc_co_u32_e32 v5, vcc, 0, v33, vcc
	v_cmp_lt_u64_e32 vcc, v[8:9], v[4:5]
	v_mov_b32_e32 v3, 1
	s_and_saveexec_b64 s[28:29], vcc
	s_cbranch_execz .LBB4_773
; %bb.764:                              ;   in Loop: Header=BB4_760 Depth=3
	s_mov_b64 s[30:31], 0
	v_mov_b32_e32 v3, 0
                                        ; implicit-def: $sgpr34_sgpr35
	s_branch .LBB4_768
.LBB4_765:                              ;   in Loop: Header=BB4_768 Depth=4
	s_or_b64 exec, exec, s[62:63]
	v_mov_b32_e32 v8, 0
	s_orn2_b64 s[60:61], s[60:61], exec
.LBB4_766:                              ;   in Loop: Header=BB4_768 Depth=4
	s_or_b64 exec, exec, s[44:45]
	s_andn2_b64 vcc, s[34:35], exec
	s_and_b64 s[34:35], s[60:61], exec
	s_or_b64 s[34:35], vcc, s[34:35]
	v_mov_b32_e32 v3, v8
.LBB4_767:                              ;   in Loop: Header=BB4_768 Depth=4
	s_or_b64 exec, exec, s[42:43]
	s_waitcnt vmcnt(0) lgkmcnt(0)
	v_add_co_u32_e32 v8, vcc, v50, v2
	v_addc_co_u32_e32 v9, vcc, 0, v51, vcc
	v_cmp_ge_u64_e32 vcc, v[8:9], v[4:5]
	s_xor_b64 s[42:43], s[34:35], -1
	s_or_b64 vcc, s[42:43], vcc
	s_and_b64 vcc, exec, vcc
	s_or_b64 s[30:31], vcc, s[30:31]
	s_andn2_b64 exec, exec, s[30:31]
	s_cbranch_execz .LBB4_772
.LBB4_768:                              ;   Parent Loop BB4_47 Depth=1
                                        ;     Parent Loop BB4_757 Depth=2
                                        ;       Parent Loop BB4_760 Depth=3
                                        ; =>      This Inner Loop Header: Depth=4
	s_sleep 1
	flat_load_dwordx2 v[50:51], v[34:35] glc
	v_and_b32_e32 v7, 64, v62
	v_cmp_eq_u32_e32 vcc, 0, v7
	s_andn2_b64 s[34:35], s[34:35], exec
	s_and_saveexec_b64 s[42:43], vcc
	s_cbranch_execz .LBB4_767
; %bb.769:                              ;   in Loop: Header=BB4_768 Depth=4
	v_add_u32_e32 v8, 1, v3
	v_cmp_lt_i32_e32 vcc, s83, v3
	s_mov_b64 s[60:61], -1
	s_and_saveexec_b64 s[44:45], vcc
	s_cbranch_execz .LBB4_766
; %bb.770:                              ;   in Loop: Header=BB4_768 Depth=4
	s_trap 2
	ds_read_b64 v[8:9], v0
	s_waitcnt vmcnt(0) lgkmcnt(0)
	flat_load_dword v3, v[8:9] glc
	s_waitcnt vmcnt(0) lgkmcnt(0)
	buffer_invl2
	buffer_wbinvl1_vol
	v_cmp_ne_u32_e32 vcc, 0, v3
	s_and_saveexec_b64 s[62:63], vcc
	s_cbranch_execz .LBB4_765
; %bb.771:                              ;   in Loop: Header=BB4_768 Depth=4
	v_or_b32_e32 v62, 64, v62
	s_xor_b64 s[60:61], exec, -1
	ds_write_b32 v0, v3
	s_trap 2
	s_branch .LBB4_765
.LBB4_772:                              ;   in Loop: Header=BB4_760 Depth=3
	s_or_b64 exec, exec, s[30:31]
	v_and_b32_e32 v3, 12, v62
.LBB4_773:                              ;   in Loop: Header=BB4_760 Depth=3
	s_or_b64 exec, exec, s[28:29]
	v_cmp_eq_u32_e32 vcc, 0, v3
	s_orn2_b64 s[28:29], vcc, exec
	;;#ASMSTART
	s_wakeup
	;;#ASMEND
.LBB4_774:                              ;   in Loop: Header=BB4_760 Depth=3
	s_or_b64 exec, exec, s[26:27]
	v_sub_u32_e32 v2, v20, v16
	s_xor_b64 s[26:27], s[28:29], -1
	v_min_i32_e32 v14, v14, v2
	s_and_saveexec_b64 s[28:29], s[26:27]
	s_cbranch_execz .LBB4_788
; %bb.775:                              ;   in Loop: Header=BB4_760 Depth=3
	v_and_b32_e32 v2, 0x108, v62
	v_cmp_ne_u32_e32 vcc, s84, v2
	v_and_b32_e32 v2, 7, v32
	s_and_saveexec_b64 s[26:27], vcc
	s_xor_b64 s[26:27], exec, s[26:27]
                                        ; implicit-def: $vgpr4_vgpr5
; %bb.776:                              ;   in Loop: Header=BB4_760 Depth=3
	v_mov_b32_e32 v5, v6
; %bb.777:                              ;   in Loop: Header=BB4_760 Depth=3
	s_andn2_saveexec_b64 s[26:27], s[26:27]
	s_cbranch_execz .LBB4_779
; %bb.778:                              ;   in Loop: Header=BB4_760 Depth=3
	v_ashrrev_i32_e32 v15, 31, v14
	v_mov_b32_e32 v5, v6
	v_mad_u64_u32 v[8:9], vcc, v2, 24, v[44:45]
	v_lshlrev_b64 v[10:11], 2, v[14:15]
	flat_store_dwordx2 v[8:9], v[10:11] offset:8
.LBB4_779:                              ;   in Loop: Header=BB4_760 Depth=3
	s_or_b64 exec, exec, s[26:27]
	v_and_b32_e32 v3, 0x100, v62
	v_cmp_ne_u32_e32 vcc, 0, v3
	s_mov_b64 s[26:27], -1
                                        ; implicit-def: $vgpr8_vgpr9
	s_and_saveexec_b64 s[30:31], vcc
	s_cbranch_execz .LBB4_783
; %bb.780:                              ;   in Loop: Header=BB4_760 Depth=3
	v_mad_u64_u32 v[10:11], s[26:27], v2, 24, v[44:45]
	v_mov_b32_e32 v4, v11
	v_mad_u64_u32 v[8:9], s[26:27], v5, 24, v[4:5]
	v_mov_b32_e32 v11, v8
	flat_load_dword v3, v[10:11]
                                        ; implicit-def: $vgpr8_vgpr9
	s_waitcnt vmcnt(0) lgkmcnt(0)
	v_cmp_ne_u32_e32 vcc, 1, v3
	v_cmp_eq_u32_e64 s[26:27], 1, v3
	s_and_saveexec_b64 s[34:35], s[26:27]
	s_cbranch_execz .LBB4_782
; %bb.781:                              ;   in Loop: Header=BB4_760 Depth=3
	flat_load_dword v8, v[10:11] offset:4 glc
	s_waitcnt vmcnt(0) lgkmcnt(0)
	v_ashrrev_i32_e32 v9, 31, v8
	v_lshrrev_b64 v[8:9], 2, v[8:9]
.LBB4_782:                              ;   in Loop: Header=BB4_760 Depth=3
	s_or_b64 exec, exec, s[34:35]
	s_orn2_b64 s[26:27], vcc, exec
.LBB4_783:                              ;   in Loop: Header=BB4_760 Depth=3
	s_or_b64 exec, exec, s[30:31]
	s_and_saveexec_b64 vcc, s[26:27]
; %bb.784:                              ;   in Loop: Header=BB4_760 Depth=3
	v_mul_lo_u32 v3, v5, v30
	v_mul_lo_u32 v4, v2, v47
	v_mad_u64_u32 v[8:9], s[26:27], v2, v30, 0
	v_add3_u32 v9, v9, v4, v3
; %bb.785:                              ;   in Loop: Header=BB4_760 Depth=3
	s_or_b64 exec, exec, vcc
	v_lshlrev_b64 v[2:3], 2, v[8:9]
	v_add_co_u32_e32 v2, vcc, v40, v2
	v_addc_co_u32_e32 v3, vcc, v41, v3, vcc
	s_trap 2
	ds_write_b64 v0, v[2:3]
	v_and_b32_e32 v2, 0x2000, v62
	v_cmp_ne_u32_e32 vcc, 0, v2
	s_and_saveexec_b64 s[26:27], vcc
	s_cbranch_execz .LBB4_787
; %bb.786:                              ;   in Loop: Header=BB4_760 Depth=3
	ds_read_b64 v[2:3], v0 offset:584
	s_waitcnt lgkmcnt(0)
	v_add_co_u32_e32 v2, vcc, 1, v2
	v_addc_co_u32_e32 v3, vcc, 0, v3, vcc
	ds_write_b64 v0, v[2:3] offset:584
.LBB4_787:                              ;   in Loop: Header=BB4_760 Depth=3
	s_or_b64 exec, exec, s[26:27]
	v_add_co_u32_e32 v32, vcc, 2, v32
	v_addc_co_u32_e32 v33, vcc, 0, v33, vcc
.LBB4_788:                              ;   in Loop: Header=BB4_760 Depth=3
	s_or_b64 exec, exec, s[28:29]
	s_and_saveexec_b64 s[26:27], s[10:11]
	s_cbranch_execz .LBB4_807
; %bb.789:                              ;   in Loop: Header=BB4_760 Depth=3
	s_and_saveexec_b64 s[28:29], s[52:53]
	s_xor_b64 s[28:29], exec, s[28:29]
	s_cbranch_execz .LBB4_804
; %bb.790:                              ;   in Loop: Header=BB4_760 Depth=3
	s_and_saveexec_b64 s[30:31], s[16:17]
	s_cbranch_execz .LBB4_803
; %bb.791:                              ;   in Loop: Header=BB4_760 Depth=3
	s_mov_b64 s[42:43], exec
	v_mbcnt_lo_u32_b32 v2, s42, 0
	v_mbcnt_hi_u32_b32 v2, s43, v2
	v_cmp_eq_u32_e32 vcc, 0, v2
	s_waitcnt vmcnt(0) lgkmcnt(0)
	buffer_wbinvl1_vol
	s_and_saveexec_b64 s[34:35], vcc
	s_cbranch_execz .LBB4_793
; %bb.792:                              ;   in Loop: Header=BB4_760 Depth=3
	s_bcnt1_i32_b64 vcc_lo, s[42:43]
	v_mov_b32_e32 v2, vcc_lo
	v_mov_b32_e32 v3, v6
	ds_add_u64 v0, v[2:3]
	s_trap 2
.LBB4_793:                              ;   in Loop: Header=BB4_760 Depth=3
	s_or_b64 exec, exec, s[34:35]
	s_trap 2
	ds_read_b64 v[2:3], v0
	v_add_co_u32_e32 v48, vcc, v48, v36
	v_addc_co_u32_e32 v49, vcc, 0, v49, vcc
	s_waitcnt lgkmcnt(0)
	v_cmp_lt_u64_e32 vcc, v[2:3], v[48:49]
	s_and_saveexec_b64 s[34:35], vcc
	s_cbranch_execz .LBB4_802
; %bb.794:                              ;   in Loop: Header=BB4_760 Depth=3
	s_mov_b32 s68, 0
	s_mov_b64 s[42:43], 0
                                        ; implicit-def: $sgpr44_sgpr45
                                        ; implicit-def: $sgpr60_sgpr61
	s_branch .LBB4_796
.LBB4_795:                              ;   in Loop: Header=BB4_796 Depth=4
	s_or_b64 exec, exec, s[64:65]
	s_and_b64 vcc, exec, vcc
	s_or_b64 s[42:43], vcc, s[42:43]
	s_andn2_b64 vcc, s[44:45], exec
	s_and_b64 s[44:45], s[60:61], exec
	s_or_b64 s[44:45], vcc, s[44:45]
	s_andn2_b64 exec, exec, s[42:43]
	s_cbranch_execz .LBB4_800
.LBB4_796:                              ;   Parent Loop BB4_47 Depth=1
                                        ;     Parent Loop BB4_757 Depth=2
                                        ;       Parent Loop BB4_760 Depth=3
                                        ; =>      This Inner Loop Header: Depth=4
	s_add_i32 s68, s68, 1
	s_cmpk_lg_i32 s68, 0x2710
	s_cselect_b64 s[62:63], -1, 0
	s_and_b64 vcc, exec, s[62:63]
                                        ; implicit-def: $sgpr64_sgpr65
	s_cbranch_vccnz .LBB4_798
; %bb.797:                              ;   in Loop: Header=BB4_796 Depth=4
	s_trap 2
	ds_read_b64 v[2:3], v0
	s_andn2_b64 s[62:63], s[62:63], exec
	s_mov_b32 s68, 0
	s_mov_b64 s[64:65], -1
	s_waitcnt lgkmcnt(0)
	flat_load_dword v2, v[2:3] glc
	s_waitcnt vmcnt(0) lgkmcnt(0)
	buffer_invl2
	buffer_wbinvl1_vol
	v_cmp_eq_u32_e32 vcc, 0, v2
	s_and_b64 vcc, vcc, exec
	s_or_b64 s[62:63], s[62:63], vcc
.LBB4_798:                              ;   in Loop: Header=BB4_796 Depth=4
	s_andn2_b64 s[60:61], s[60:61], exec
	s_and_b64 s[64:65], s[64:65], exec
	s_mov_b64 vcc, -1
	s_or_b64 s[60:61], s[60:61], s[64:65]
	s_and_saveexec_b64 s[64:65], s[62:63]
	s_cbranch_execz .LBB4_795
; %bb.799:                              ;   in Loop: Header=BB4_796 Depth=4
	s_sleep 1
	s_trap 2
	ds_read_b64 v[2:3], v0
	s_andn2_b64 s[60:61], s[60:61], exec
	s_waitcnt lgkmcnt(0)
	v_cmp_ge_u64_e32 vcc, v[2:3], v[48:49]
	s_orn2_b64 vcc, vcc, exec
	s_branch .LBB4_795
.LBB4_800:                              ;   in Loop: Header=BB4_760 Depth=3
	s_or_b64 exec, exec, s[42:43]
	s_and_saveexec_b64 vcc, s[44:45]
	s_xor_b64 vcc, exec, vcc
	s_cbranch_execz .LBB4_802
; %bb.801:                              ;   in Loop: Header=BB4_760 Depth=3
	ds_write_b32 v0, v46
	s_trap 2
.LBB4_802:                              ;   in Loop: Header=BB4_760 Depth=3
	s_or_b64 exec, exec, s[34:35]
	;;#ASMSTART
	s_wakeup
	;;#ASMEND
.LBB4_803:                              ;   in Loop: Header=BB4_760 Depth=3
	s_or_b64 exec, exec, s[30:31]
.LBB4_804:                              ;   in Loop: Header=BB4_760 Depth=3
	s_andn2_saveexec_b64 s[28:29], s[28:29]
	s_cbranch_execz .LBB4_806
; %bb.805:                              ;   in Loop: Header=BB4_760 Depth=3
	s_waitcnt vmcnt(0) lgkmcnt(0)
	buffer_wbinvl1_vol
	s_barrier
.LBB4_806:                              ;   in Loop: Header=BB4_760 Depth=3
	s_or_b64 exec, exec, s[28:29]
.LBB4_807:                              ;   in Loop: Header=BB4_760 Depth=3
	s_or_b64 exec, exec, s[26:27]
	s_trap 2
	ds_read_b32 v2, v0
	v_and_b32_e32 v3, 0x4000, v62
	v_cmp_ne_u32_e32 vcc, 0, v3
	s_xor_b64 s[26:27], s[6:7], -1
	s_and_b64 s[28:29], s[26:27], vcc
	s_and_saveexec_b64 s[26:27], s[28:29]
	s_cbranch_execz .LBB4_826
; %bb.808:                              ;   in Loop: Header=BB4_760 Depth=3
	s_and_saveexec_b64 s[28:29], s[52:53]
	s_xor_b64 s[28:29], exec, s[28:29]
	s_cbranch_execz .LBB4_823
; %bb.809:                              ;   in Loop: Header=BB4_760 Depth=3
	s_and_saveexec_b64 s[30:31], s[16:17]
	s_cbranch_execz .LBB4_822
; %bb.810:                              ;   in Loop: Header=BB4_760 Depth=3
	s_mov_b64 s[42:43], exec
	v_mbcnt_lo_u32_b32 v3, s42, 0
	v_mbcnt_hi_u32_b32 v3, s43, v3
	v_cmp_eq_u32_e32 vcc, 0, v3
	s_waitcnt vmcnt(0) lgkmcnt(0)
	buffer_wbinvl1_vol
	s_and_saveexec_b64 s[34:35], vcc
	s_cbranch_execz .LBB4_812
; %bb.811:                              ;   in Loop: Header=BB4_760 Depth=3
	s_bcnt1_i32_b64 vcc_lo, s[42:43]
	v_mov_b32_e32 v4, vcc_lo
	v_mov_b32_e32 v5, v6
	ds_add_u64 v0, v[4:5]
	s_trap 2
.LBB4_812:                              ;   in Loop: Header=BB4_760 Depth=3
	s_or_b64 exec, exec, s[34:35]
	s_trap 2
	ds_read_b64 v[4:5], v0
	v_add_co_u32_e32 v48, vcc, v48, v36
	v_addc_co_u32_e32 v49, vcc, 0, v49, vcc
	s_waitcnt lgkmcnt(0)
	v_cmp_lt_u64_e32 vcc, v[4:5], v[48:49]
	s_and_saveexec_b64 s[34:35], vcc
	s_cbranch_execz .LBB4_821
; %bb.813:                              ;   in Loop: Header=BB4_760 Depth=3
	s_mov_b32 s68, 0
	s_mov_b64 s[42:43], 0
                                        ; implicit-def: $sgpr44_sgpr45
                                        ; implicit-def: $sgpr60_sgpr61
	s_branch .LBB4_815
.LBB4_814:                              ;   in Loop: Header=BB4_815 Depth=4
	s_or_b64 exec, exec, s[64:65]
	s_and_b64 vcc, exec, vcc
	s_or_b64 s[42:43], vcc, s[42:43]
	s_andn2_b64 vcc, s[44:45], exec
	s_and_b64 s[44:45], s[60:61], exec
	s_or_b64 s[44:45], vcc, s[44:45]
	s_andn2_b64 exec, exec, s[42:43]
	s_cbranch_execz .LBB4_819
.LBB4_815:                              ;   Parent Loop BB4_47 Depth=1
                                        ;     Parent Loop BB4_757 Depth=2
                                        ;       Parent Loop BB4_760 Depth=3
                                        ; =>      This Inner Loop Header: Depth=4
	s_add_i32 s68, s68, 1
	s_cmpk_lg_i32 s68, 0x2710
	s_cselect_b64 s[62:63], -1, 0
	s_and_b64 vcc, exec, s[62:63]
                                        ; implicit-def: $sgpr64_sgpr65
	s_cbranch_vccnz .LBB4_817
; %bb.816:                              ;   in Loop: Header=BB4_815 Depth=4
	s_trap 2
	ds_read_b64 v[4:5], v0
	s_andn2_b64 s[62:63], s[62:63], exec
	s_mov_b32 s68, 0
	s_mov_b64 s[64:65], -1
	s_waitcnt lgkmcnt(0)
	flat_load_dword v3, v[4:5] glc
	s_waitcnt vmcnt(0) lgkmcnt(0)
	buffer_invl2
	buffer_wbinvl1_vol
	v_cmp_eq_u32_e32 vcc, 0, v3
	s_and_b64 vcc, vcc, exec
	s_or_b64 s[62:63], s[62:63], vcc
.LBB4_817:                              ;   in Loop: Header=BB4_815 Depth=4
	s_andn2_b64 s[60:61], s[60:61], exec
	s_and_b64 s[64:65], s[64:65], exec
	s_mov_b64 vcc, -1
	s_or_b64 s[60:61], s[60:61], s[64:65]
	s_and_saveexec_b64 s[64:65], s[62:63]
	s_cbranch_execz .LBB4_814
; %bb.818:                              ;   in Loop: Header=BB4_815 Depth=4
	s_sleep 1
	s_trap 2
	ds_read_b64 v[4:5], v0
	s_andn2_b64 s[60:61], s[60:61], exec
	s_waitcnt lgkmcnt(0)
	v_cmp_ge_u64_e32 vcc, v[4:5], v[48:49]
	s_orn2_b64 vcc, vcc, exec
	s_branch .LBB4_814
.LBB4_819:                              ;   in Loop: Header=BB4_760 Depth=3
	s_or_b64 exec, exec, s[42:43]
	s_and_saveexec_b64 vcc, s[44:45]
	s_xor_b64 vcc, exec, vcc
	s_cbranch_execz .LBB4_821
; %bb.820:                              ;   in Loop: Header=BB4_760 Depth=3
	ds_write_b32 v0, v46
	s_trap 2
.LBB4_821:                              ;   in Loop: Header=BB4_760 Depth=3
	s_or_b64 exec, exec, s[34:35]
	;;#ASMSTART
	s_wakeup
	;;#ASMEND
.LBB4_822:                              ;   in Loop: Header=BB4_760 Depth=3
	s_or_b64 exec, exec, s[30:31]
.LBB4_823:                              ;   in Loop: Header=BB4_760 Depth=3
	s_andn2_saveexec_b64 s[28:29], s[28:29]
	s_cbranch_execz .LBB4_825
; %bb.824:                              ;   in Loop: Header=BB4_760 Depth=3
	s_waitcnt vmcnt(0) lgkmcnt(0)
	buffer_wbinvl1_vol
	s_barrier
.LBB4_825:                              ;   in Loop: Header=BB4_760 Depth=3
	s_or_b64 exec, exec, s[28:29]
.LBB4_826:                              ;   in Loop: Header=BB4_760 Depth=3
	s_or_b64 exec, exec, s[26:27]
	s_trap 2
	ds_read_b64 v[4:5], v0
	v_mov_b32_e32 v15, 0
	s_waitcnt lgkmcnt(0)
	v_readfirstlane_b32 s26, v4
	v_readfirstlane_b32 s27, v5
	s_cmp_eq_u64 s[26:27], 0
	s_cselect_b64 s[26:27], -1, 0
	s_or_b64 s[26:27], s[26:27], s[26:27]
	s_and_b64 vcc, exec, s[26:27]
	s_cbranch_vccnz .LBB4_835
; %bb.827:                              ;   in Loop: Header=BB4_760 Depth=3
	s_trap 2
	ds_read_b64 v[4:5], v0
	v_cmp_eq_u32_e32 vcc, 0, v2
	v_cndmask_b32_e32 v15, 0, v14, vcc
	v_lshlrev_b32_e32 v17, 2, v15
	s_waitcnt lgkmcnt(0)
	v_cmp_ne_u64_e32 vcc, 0, v[4:5]
	s_cbranch_vccz .LBB4_847
; %bb.828:                              ;   in Loop: Header=BB4_760 Depth=3
	s_mov_b64 s[28:29], -1
	s_and_saveexec_b64 s[26:27], s[20:21]
	s_cbranch_execz .LBB4_830
; %bb.829:                              ;   in Loop: Header=BB4_760 Depth=3
	ds_read_b32 v2, v0 offset:720
	s_waitcnt lgkmcnt(0)
	v_and_b32_e32 v2, 15, v2
	v_cmp_eq_u32_e32 vcc, 0, v2
	s_orn2_b64 s[28:29], vcc, exec
.LBB4_830:                              ;   in Loop: Header=BB4_760 Depth=3
	s_or_b64 exec, exec, s[26:27]
	s_and_saveexec_b64 s[26:27], s[22:23]
	s_cbranch_execz .LBB4_832
; %bb.831:                              ;   in Loop: Header=BB4_760 Depth=3
	ds_read_b32 v2, v0 offset:784
	s_waitcnt lgkmcnt(0)
	v_and_b32_e32 v2, 15, v2
	v_cmp_eq_u32_e32 vcc, 0, v2
	s_and_b64 vcc, s[28:29], vcc
	s_andn2_b64 s[28:29], s[28:29], exec
	s_and_b64 vcc, vcc, exec
	s_or_b64 s[28:29], s[28:29], vcc
.LBB4_832:                              ;   in Loop: Header=BB4_760 Depth=3
	s_or_b64 exec, exec, s[26:27]
	s_xor_b64 s[28:29], s[28:29], -1
	v_cndmask_b32_e64 v2, 0, 1, s[28:29]
	;;#ASMSTART
	;;#ASMEND
	s_mov_b64 s[26:27], -1
	v_cmp_ne_u32_e32 vcc, 0, v2
	v_mov_b32_e32 v10, 0
	v_mov_b32_e32 v11, v17
	;; [unrolled: 1-line block ×4, first 2 shown]
	s_cbranch_vccz .LBB4_848
; %bb.833:                              ;   in Loop: Header=BB4_760 Depth=3
	s_and_saveexec_b64 s[34:35], s[26:27]
	s_cbranch_execnz .LBB4_863
.LBB4_834:                              ;   in Loop: Header=BB4_760 Depth=3
	s_or_b64 exec, exec, s[34:35]
.LBB4_835:                              ;   in Loop: Header=BB4_760 Depth=3
	s_and_saveexec_b64 s[26:27], s[10:11]
	s_cbranch_execz .LBB4_881
.LBB4_836:                              ;   in Loop: Header=BB4_760 Depth=3
	s_and_saveexec_b64 s[28:29], s[52:53]
	s_xor_b64 s[28:29], exec, s[28:29]
	s_cbranch_execz .LBB4_911
; %bb.837:                              ;   in Loop: Header=BB4_760 Depth=3
	s_and_saveexec_b64 s[30:31], s[16:17]
	s_cbranch_execz .LBB4_910
; %bb.838:                              ;   in Loop: Header=BB4_760 Depth=3
	s_mov_b64 s[42:43], exec
	v_mbcnt_lo_u32_b32 v2, s42, 0
	v_mbcnt_hi_u32_b32 v2, s43, v2
	v_cmp_eq_u32_e32 vcc, 0, v2
	s_waitcnt vmcnt(0) lgkmcnt(0)
	buffer_wbinvl1_vol
	s_and_saveexec_b64 s[34:35], vcc
	s_cbranch_execz .LBB4_840
; %bb.839:                              ;   in Loop: Header=BB4_760 Depth=3
	s_bcnt1_i32_b64 vcc_lo, s[42:43]
	v_mov_b32_e32 v2, vcc_lo
	v_mov_b32_e32 v3, v6
	ds_add_u64 v0, v[2:3]
	s_trap 2
.LBB4_840:                              ;   in Loop: Header=BB4_760 Depth=3
	s_or_b64 exec, exec, s[34:35]
	s_trap 2
	ds_read_b64 v[2:3], v0
	v_add_co_u32_e32 v48, vcc, v48, v36
	v_addc_co_u32_e32 v49, vcc, 0, v49, vcc
	s_waitcnt lgkmcnt(0)
	v_cmp_lt_u64_e32 vcc, v[2:3], v[48:49]
	s_and_saveexec_b64 s[34:35], vcc
	s_cbranch_execz .LBB4_909
; %bb.841:                              ;   in Loop: Header=BB4_760 Depth=3
	s_mov_b32 s68, 0
	s_mov_b64 s[42:43], 0
                                        ; implicit-def: $sgpr44_sgpr45
                                        ; implicit-def: $sgpr60_sgpr61
	s_branch .LBB4_843
.LBB4_842:                              ;   in Loop: Header=BB4_843 Depth=4
	s_or_b64 exec, exec, s[64:65]
	s_and_b64 vcc, exec, vcc
	s_or_b64 s[42:43], vcc, s[42:43]
	s_andn2_b64 vcc, s[44:45], exec
	s_and_b64 s[44:45], s[60:61], exec
	s_or_b64 s[44:45], vcc, s[44:45]
	s_andn2_b64 exec, exec, s[42:43]
	s_cbranch_execz .LBB4_907
.LBB4_843:                              ;   Parent Loop BB4_47 Depth=1
                                        ;     Parent Loop BB4_757 Depth=2
                                        ;       Parent Loop BB4_760 Depth=3
                                        ; =>      This Inner Loop Header: Depth=4
	s_add_i32 s68, s68, 1
	s_cmpk_lg_i32 s68, 0x2710
	s_cselect_b64 s[62:63], -1, 0
	s_and_b64 vcc, exec, s[62:63]
                                        ; implicit-def: $sgpr64_sgpr65
	s_cbranch_vccnz .LBB4_845
; %bb.844:                              ;   in Loop: Header=BB4_843 Depth=4
	s_trap 2
	ds_read_b64 v[2:3], v0
	s_andn2_b64 s[62:63], s[62:63], exec
	s_mov_b32 s68, 0
	s_mov_b64 s[64:65], -1
	s_waitcnt lgkmcnt(0)
	flat_load_dword v2, v[2:3] glc
	s_waitcnt vmcnt(0) lgkmcnt(0)
	buffer_invl2
	buffer_wbinvl1_vol
	v_cmp_eq_u32_e32 vcc, 0, v2
	s_and_b64 vcc, vcc, exec
	s_or_b64 s[62:63], s[62:63], vcc
.LBB4_845:                              ;   in Loop: Header=BB4_843 Depth=4
	s_andn2_b64 s[60:61], s[60:61], exec
	s_and_b64 s[64:65], s[64:65], exec
	s_mov_b64 vcc, -1
	s_or_b64 s[60:61], s[60:61], s[64:65]
	s_and_saveexec_b64 s[64:65], s[62:63]
	s_cbranch_execz .LBB4_842
; %bb.846:                              ;   in Loop: Header=BB4_843 Depth=4
	s_sleep 1
	s_trap 2
	ds_read_b64 v[2:3], v0
	s_andn2_b64 s[60:61], s[60:61], exec
	s_waitcnt lgkmcnt(0)
	v_cmp_ge_u64_e32 vcc, v[2:3], v[48:49]
	s_orn2_b64 vcc, vcc, exec
	s_branch .LBB4_842
.LBB4_847:                              ;   in Loop: Header=BB4_760 Depth=3
	s_cbranch_execnz .LBB4_874
	s_branch .LBB4_835
.LBB4_848:                              ;   in Loop: Header=BB4_760 Depth=3
	v_ashrrev_i32_e32 v2, 31, v17
	v_lshrrev_b32_e32 v2, 21, v2
	v_add_u32_e32 v2, v17, v2
	v_ashrrev_i32_e32 v10, 11, v2
	v_sub_u32_e32 v13, v10, v0
	v_cmp_lt_i32_e32 vcc, 0, v13
	s_and_saveexec_b64 s[26:27], vcc
	s_cbranch_execz .LBB4_852
; %bb.849:                              ;   in Loop: Header=BB4_760 Depth=3
	s_trap 2
	ds_read_b64 v[2:3], v0
	ds_read_b128 v[22:25], v0
	v_accvgpr_read_b32 v8, a26
	v_accvgpr_read_b32 v9, a27
	s_mov_b64 s[28:29], 0
	s_waitcnt lgkmcnt(0)
	v_add_co_u32_e32 v2, vcc, v2, v8
	v_addc_co_u32_e32 v3, vcc, v3, v9, vcc
	v_add_co_u32_e32 v4, vcc, v22, v8
	v_addc_co_u32_e32 v5, vcc, v23, v9, vcc
	;; [unrolled: 2-line block ×3, first 2 shown]
.LBB4_850:                              ;   Parent Loop BB4_47 Depth=1
                                        ;     Parent Loop BB4_757 Depth=2
                                        ;       Parent Loop BB4_760 Depth=3
                                        ; =>      This Inner Loop Header: Depth=4
	global_load_dwordx4 v[22:25], v[2:3], off glc slc
	global_load_dwordx4 v[52:55], v[2:3], off offset:1024 glc slc
	v_add_co_u32_e32 v2, vcc, v2, v58
	v_addc_co_u32_e32 v3, vcc, v3, v59, vcc
	v_sub_u32_e32 v13, v13, v36
	v_cmp_gt_i32_e32 vcc, 1, v13
	s_or_b64 s[28:29], vcc, s[28:29]
	s_waitcnt vmcnt(0)
	global_store_dwordx4 v[4:5], v[22:25], off glc slc
	global_store_dwordx4 v[4:5], v[52:55], off offset:1024 glc slc
	global_store_dwordx4 v[8:9], v[22:25], off glc slc
	global_store_dwordx4 v[8:9], v[52:55], off offset:1024 glc slc
	v_add_co_u32_e32 v4, vcc, v4, v58
	v_addc_co_u32_e32 v5, vcc, v5, v59, vcc
	v_add_co_u32_e32 v8, vcc, v8, v58
	v_addc_co_u32_e32 v9, vcc, v9, v59, vcc
	s_andn2_b64 exec, exec, s[28:29]
	s_cbranch_execnz .LBB4_850
; %bb.851:                              ;   in Loop: Header=BB4_760 Depth=3
	s_or_b64 exec, exec, s[28:29]
	v_accvgpr_read_b32 v54, a22
	v_accvgpr_read_b32 v53, a21
.LBB4_852:                              ;   in Loop: Header=BB4_760 Depth=3
	s_or_b64 exec, exec, s[26:27]
	v_lshlrev_b32_e32 v21, 11, v10
	v_cmp_ne_u32_e32 vcc, v17, v21
	s_mov_b64 s[26:27], 0
	v_mov_b32_e32 v10, 0
                                        ; implicit-def: $vgpr11
                                        ; implicit-def: $vgpr12
                                        ; implicit-def: $vgpr2
	s_and_saveexec_b64 s[42:43], vcc
	s_cbranch_execz .LBB4_862
; %bb.853:                              ;   in Loop: Header=BB4_760 Depth=3
	v_lshlrev_b32_e32 v2, 6, v13
	v_sub_u32_e32 v2, v57, v2
	v_ashrrev_i32_e32 v4, 31, v2
	v_lshrrev_b32_e32 v4, 26, v4
	v_add_u32_e32 v4, v2, v4
	v_sub_u32_e32 v3, v17, v21
	v_ashrrev_i32_e32 v5, 6, v4
	v_and_b32_e32 v4, 0xffffffc0, v4
	v_sub_u32_e32 v22, v2, v4
	v_ashrrev_i32_e32 v4, 31, v3
	v_lshrrev_b32_e32 v4, 22, v4
	v_add_u32_e32 v4, v3, v4
	v_and_b32_e32 v23, 0xfffffc00, v4
	v_lshlrev_b32_e32 v2, 4, v22
	v_sub_u32_e32 v25, v3, v23
	v_lshl_add_u32 v2, v5, 10, v2
	v_ashrrev_i32_e32 v7, 10, v4
	v_cmp_lt_i32_e64 s[26:27], 15, v25
	v_sub_u32_e32 v28, v3, v2
	v_addc_co_u32_e64 v3, vcc, 0, v7, s[26:27]
	v_sub_u32_e32 v24, v3, v5
	v_cmp_lt_i32_e32 vcc, 15, v28
	s_and_saveexec_b64 s[44:45], vcc
	s_cbranch_execz .LBB4_859
; %bb.854:                              ;   in Loop: Header=BB4_760 Depth=3
	s_trap 2
	ds_read_b64 v[4:5], v0
	ds_read_b128 v[8:11], v0
	v_add_u32_e32 v7, v2, v21
	v_ashrrev_i32_e32 v12, 31, v7
	s_mov_b64 s[60:61], 0
	s_waitcnt lgkmcnt(0)
	v_add_co_u32_e32 v4, vcc, v4, v7
	v_addc_co_u32_e32 v5, vcc, v5, v12, vcc
	v_add_co_u32_e32 v2, vcc, v8, v7
	v_addc_co_u32_e32 v3, vcc, v9, v12, vcc
	;; [unrolled: 2-line block ×3, first 2 shown]
.LBB4_855:                              ;   Parent Loop BB4_47 Depth=1
                                        ;     Parent Loop BB4_757 Depth=2
                                        ;       Parent Loop BB4_760 Depth=3
                                        ; =>      This Loop Header: Depth=4
                                        ;           Child Loop BB4_856 Depth 5
	global_load_dwordx4 v[10:13], v[4:5], off glc slc
	s_mov_b64 s[64:65], -1
	s_mov_b64 s[62:63], 0
	s_waitcnt vmcnt(0)
.LBB4_856:                              ;   Parent Loop BB4_47 Depth=1
                                        ;     Parent Loop BB4_757 Depth=2
                                        ;       Parent Loop BB4_760 Depth=3
                                        ;         Parent Loop BB4_855 Depth=4
                                        ; =>        This Inner Loop Header: Depth=5
	s_cmp_eq_u32 s62, 0
	s_cselect_b64 s[28:29], -1, 0
	s_cmp_eq_u32 s62, 1
	s_cselect_b64 s[34:35], -1, 0
	v_cndmask_b32_e64 v7, 0, 1, s[64:65]
	v_cndmask_b32_e64 v38, v2, v8, s[34:35]
	v_cmp_ne_u32_e64 s[30:31], 1, v7
	v_cndmask_b32_e64 v39, v3, v9, s[34:35]
	v_add_co_u32_e32 v7, vcc, 0x400, v38
	v_addc_co_u32_e32 v29, vcc, 0, v39, vcc
	s_mov_b64 s[64:65], 0
	s_mov_b64 s[62:63], 1
	v_cndmask_b32_e64 v8, v8, v7, s[34:35]
	s_and_b64 vcc, exec, s[30:31]
	v_cndmask_b32_e64 v9, v9, v29, s[34:35]
	v_cndmask_b32_e64 v3, v3, v29, s[28:29]
	;; [unrolled: 1-line block ×3, first 2 shown]
	global_store_dwordx4 v[38:39], v[10:13], off glc slc
	s_cbranch_vccz .LBB4_856
; %bb.857:                              ;   in Loop: Header=BB4_855 Depth=4
	v_add_co_u32_e32 v2, vcc, v2, v54
	v_addc_co_u32_e32 v3, vcc, v3, v53, vcc
	v_add_co_u32_e32 v8, vcc, v8, v54
	v_addc_co_u32_e32 v9, vcc, v9, v53, vcc
	v_add_co_u32_e32 v4, vcc, v31, v4
	v_addc_co_u32_e32 v5, vcc, v1, v5, vcc
	v_sub_u32_e32 v28, v28, v61
	v_cmp_gt_i32_e32 vcc, 16, v28
	s_or_b64 s[60:61], vcc, s[60:61]
	v_sub_u32_e32 v24, v24, v36
	s_andn2_b64 exec, exec, s[60:61]
	s_cbranch_execnz .LBB4_855
; %bb.858:                              ;   in Loop: Header=BB4_760 Depth=3
	s_or_b64 exec, exec, s[60:61]
	v_accvgpr_read_b32 v39, a17
	v_accvgpr_read_b32 v38, a16
.LBB4_859:                              ;   in Loop: Header=BB4_760 Depth=3
	s_or_b64 exec, exec, s[44:45]
	v_and_b32_e32 v3, 12, v17
	v_cndmask_b32_e64 v11, v25, v3, s[26:27]
	s_mov_b64 s[28:29], 0
	v_mov_b32_e32 v10, 0
	v_cmp_ne_u32_e32 vcc, 0, v11
                                        ; implicit-def: $vgpr12
                                        ; implicit-def: $vgpr2
	s_mov_b64 s[30:31], exec
	s_and_b64 vcc, s[30:31], vcc
	v_accvgpr_read_b32 v28, a24
	s_mov_b64 exec, vcc
	s_cbranch_execz .LBB4_861
; %bb.860:                              ;   in Loop: Header=BB4_760 Depth=3
	v_sub_u32_e32 v2, v25, v3
	v_cndmask_b32_e64 v2, 0, v2, s[26:27]
	v_cmp_lt_i32_e32 vcc, 0, v24
	v_add3_u32 v10, v23, v21, v2
	v_cndmask_b32_e32 v2, 0, v36, vcc
	v_sub_u32_e32 v2, v2, v24
	v_lshl_add_u32 v12, v2, 6, v22
	v_ashrrev_i32_e32 v2, 31, v12
	v_lshrrev_b32_e32 v2, 26, v2
	v_add_u32_e32 v2, v12, v2
	s_mov_b64 s[28:29], exec
	v_ashrrev_i32_e32 v2, 6, v2
.LBB4_861:                              ;   in Loop: Header=BB4_760 Depth=3
	s_or_b64 exec, exec, s[30:31]
	s_and_b64 s[26:27], s[28:29], exec
.LBB4_862:                              ;   in Loop: Header=BB4_760 Depth=3
	s_or_b64 exec, exec, s[42:43]
	s_and_saveexec_b64 s[34:35], s[26:27]
	s_cbranch_execz .LBB4_834
.LBB4_863:                              ;   in Loop: Header=BB4_760 Depth=3
	v_ashrrev_i32_e32 v3, 31, v11
	v_lshrrev_b32_e32 v3, 22, v3
	v_add_u32_e32 v3, v11, v3
	v_ashrrev_i32_e32 v22, 10, v3
	v_sub_u32_e32 v13, v22, v2
	v_ashrrev_i32_e32 v3, 31, v12
	v_cmp_lt_i32_e32 vcc, 0, v13
	v_lshrrev_b32_e32 v21, 26, v3
	s_and_saveexec_b64 s[26:27], vcc
	s_cbranch_execz .LBB4_867
; %bb.864:                              ;   in Loop: Header=BB4_760 Depth=3
	v_add_u32_e32 v3, v12, v21
	v_and_b32_e32 v3, 0x3fffffc0, v3
	v_sub_u32_e32 v3, v12, v3
	s_trap 2
	v_lshlrev_b32_e32 v4, 2, v3
	v_lshlrev_b32_e32 v5, 10, v2
	ds_read_b64 v[2:3], v0
	ds_read_b128 v[52:55], v0
	v_add3_u32 v7, v4, v10, v5
	v_ashrrev_i32_e32 v9, 31, v7
	s_mov_b64 s[28:29], 0
	s_waitcnt lgkmcnt(0)
	v_add_co_u32_e32 v2, vcc, v2, v7
	v_addc_co_u32_e32 v3, vcc, v3, v9, vcc
	v_add_co_u32_e32 v4, vcc, v52, v7
	v_addc_co_u32_e32 v5, vcc, v53, v9, vcc
	;; [unrolled: 2-line block ×3, first 2 shown]
.LBB4_865:                              ;   Parent Loop BB4_47 Depth=1
                                        ;     Parent Loop BB4_757 Depth=2
                                        ;       Parent Loop BB4_760 Depth=3
                                        ; =>      This Inner Loop Header: Depth=4
	flat_load_dword v7, v[2:3] glc slc
	flat_load_dword v23, v[2:3] offset:256 glc slc
	flat_load_dword v24, v[2:3] offset:512 glc slc
	;; [unrolled: 1-line block ×3, first 2 shown]
	v_add_co_u32_e32 v2, vcc, v2, v31
	v_addc_co_u32_e32 v3, vcc, v3, v1, vcc
	v_sub_u32_e32 v13, v13, v36
	v_cmp_gt_i32_e32 vcc, 1, v13
	s_or_b64 s[28:29], vcc, s[28:29]
	s_waitcnt vmcnt(0) lgkmcnt(0)
	flat_store_dword v[4:5], v7 glc slc
	flat_store_dword v[4:5], v23 offset:256 glc slc
	flat_store_dword v[4:5], v24 offset:512 glc slc
	;; [unrolled: 1-line block ×3, first 2 shown]
	flat_store_dword v[8:9], v7 glc slc
	flat_store_dword v[8:9], v23 offset:256 glc slc
	flat_store_dword v[8:9], v24 offset:512 glc slc
	;; [unrolled: 1-line block ×3, first 2 shown]
	v_add_co_u32_e32 v4, vcc, v4, v31
	v_addc_co_u32_e32 v5, vcc, v5, v1, vcc
	v_add_co_u32_e32 v8, vcc, v8, v31
	v_addc_co_u32_e32 v9, vcc, v9, v1, vcc
	s_andn2_b64 exec, exec, s[28:29]
	s_cbranch_execnz .LBB4_865
; %bb.866:                              ;   in Loop: Header=BB4_760 Depth=3
	s_or_b64 exec, exec, s[28:29]
	v_accvgpr_read_b32 v54, a22
	v_accvgpr_read_b32 v53, a21
.LBB4_867:                              ;   in Loop: Header=BB4_760 Depth=3
	s_or_b64 exec, exec, s[26:27]
	v_lshlrev_b32_e32 v2, 10, v22
	v_cmp_ne_u32_e32 vcc, v11, v2
	s_and_saveexec_b64 s[42:43], vcc
	s_cbranch_execz .LBB4_873
; %bb.868:                              ;   in Loop: Header=BB4_760 Depth=3
	v_add_u32_e32 v3, v12, v21
	v_and_b32_e32 v3, 0xffffffc0, v3
	v_sub_u32_e32 v3, v12, v3
	v_lshlrev_b32_e32 v4, 6, v13
	v_sub_u32_e32 v3, v3, v4
	v_ashrrev_i32_e32 v4, 31, v3
	v_lshrrev_b32_e32 v4, 26, v4
	v_add_u32_e32 v4, v3, v4
	v_and_b32_e32 v5, 0x3fffffc0, v4
	v_sub_u32_e32 v3, v3, v5
	v_lshlrev_b32_e32 v4, 2, v4
	v_and_b32_e32 v4, 0xffffff00, v4
	v_lshlrev_b32_e32 v3, 2, v3
	v_add3_u32 v2, v4, v3, v2
	v_sub_u32_e32 v11, v11, v2
	v_cmp_lt_i32_e32 vcc, 3, v11
	s_and_b64 exec, exec, vcc
	s_cbranch_execz .LBB4_873
; %bb.869:                              ;   in Loop: Header=BB4_760 Depth=3
	s_trap 2
	ds_read_b64 v[4:5], v0
	ds_read_b128 v[22:25], v0
	v_add_u32_e32 v7, v2, v10
	v_ashrrev_i32_e32 v9, 31, v7
	s_mov_b64 s[44:45], 0
	s_waitcnt lgkmcnt(0)
	v_add_co_u32_e32 v4, vcc, v4, v7
	v_addc_co_u32_e32 v5, vcc, v5, v9, vcc
	v_add_co_u32_e32 v2, vcc, v22, v7
	v_addc_co_u32_e32 v3, vcc, v23, v9, vcc
	;; [unrolled: 2-line block ×3, first 2 shown]
.LBB4_870:                              ;   Parent Loop BB4_47 Depth=1
                                        ;     Parent Loop BB4_757 Depth=2
                                        ;       Parent Loop BB4_760 Depth=3
                                        ; =>      This Loop Header: Depth=4
                                        ;           Child Loop BB4_871 Depth 5
	flat_load_dword v10, v[4:5] glc slc
	s_mov_b64 s[62:63], -1
	s_mov_b64 s[60:61], 0
	s_waitcnt vmcnt(0)
.LBB4_871:                              ;   Parent Loop BB4_47 Depth=1
                                        ;     Parent Loop BB4_757 Depth=2
                                        ;       Parent Loop BB4_760 Depth=3
                                        ;         Parent Loop BB4_870 Depth=4
                                        ; =>        This Inner Loop Header: Depth=5
	s_cmp_eq_u32 s60, 0
	s_cselect_b64 s[26:27], -1, 0
	s_cmp_eq_u32 s60, 1
	s_cselect_b64 s[30:31], -1, 0
	v_cndmask_b32_e64 v7, 0, 1, s[62:63]
	v_cndmask_b32_e64 v12, v2, v8, s[30:31]
	v_cmp_ne_u32_e64 s[28:29], 1, v7
	v_cndmask_b32_e64 v13, v3, v9, s[30:31]
	v_add_co_u32_e32 v7, vcc, 0x100, v12
	s_waitcnt lgkmcnt(0)
	flat_store_dword v[12:13], v10 glc slc
	v_addc_co_u32_e32 v12, vcc, 0, v13, vcc
	s_mov_b64 s[62:63], 0
	s_mov_b64 s[60:61], 1
	v_cndmask_b32_e64 v8, v8, v7, s[30:31]
	s_and_b64 vcc, exec, s[28:29]
	v_cndmask_b32_e64 v9, v9, v12, s[30:31]
	v_cndmask_b32_e64 v3, v3, v12, s[26:27]
	v_cndmask_b32_e64 v2, v2, v7, s[26:27]
	s_cbranch_vccz .LBB4_871
; %bb.872:                              ;   in Loop: Header=BB4_870 Depth=4
	v_add_co_u32_e32 v2, vcc, v2, v28
	v_accvgpr_read_b32 v7, a23
	v_addc_co_u32_e32 v3, vcc, v3, v7, vcc
	v_add_co_u32_e32 v8, vcc, v8, v28
	v_addc_co_u32_e32 v9, vcc, v9, v7, vcc
	v_sub_u32_e32 v11, v11, v37
	v_cmp_gt_i32_e32 vcc, 4, v11
	s_or_b64 s[44:45], vcc, s[44:45]
	v_add_co_u32_e32 v4, vcc, v42, v4
	v_addc_co_u32_e32 v5, vcc, v43, v5, vcc
	s_andn2_b64 exec, exec, s[44:45]
	s_cbranch_execnz .LBB4_870
.LBB4_873:                              ;   in Loop: Header=BB4_760 Depth=3
	s_or_b64 exec, exec, s[42:43]
	s_or_b64 exec, exec, s[34:35]
	s_branch .LBB4_835
.LBB4_874:                              ;   in Loop: Header=BB4_760 Depth=3
	s_mov_b64 s[26:27], -1
	s_and_saveexec_b64 s[28:29], s[20:21]
	s_cbranch_execz .LBB4_876
; %bb.875:                              ;   in Loop: Header=BB4_760 Depth=3
	ds_read_b32 v2, v0 offset:720
	s_waitcnt lgkmcnt(0)
	v_and_b32_e32 v2, 15, v2
	v_cmp_eq_u32_e32 vcc, 0, v2
	s_orn2_b64 s[26:27], vcc, exec
.LBB4_876:                              ;   in Loop: Header=BB4_760 Depth=3
	s_or_b64 exec, exec, s[28:29]
	s_and_saveexec_b64 s[28:29], s[18:19]
	s_cbranch_execz .LBB4_878
; %bb.877:                              ;   in Loop: Header=BB4_760 Depth=3
	ds_read_b32 v2, v0 offset:784
	s_waitcnt lgkmcnt(0)
	v_and_b32_e32 v2, 15, v2
	v_cmp_eq_u32_e32 vcc, 0, v2
	s_and_b64 vcc, s[26:27], vcc
	s_andn2_b64 s[26:27], s[26:27], exec
	s_and_b64 vcc, vcc, exec
	s_or_b64 s[26:27], s[26:27], vcc
.LBB4_878:                              ;   in Loop: Header=BB4_760 Depth=3
	s_or_b64 exec, exec, s[28:29]
	s_xor_b64 s[26:27], s[26:27], -1
	v_cndmask_b32_e64 v2, 0, 1, s[26:27]
	s_mov_b64 s[30:31], -1
	;;#ASMSTART
	;;#ASMEND
	v_cmp_ne_u32_e32 vcc, 0, v2
	v_mov_b32_e32 v10, 0
	s_cbranch_vccz .LBB4_885
; %bb.879:                              ;   in Loop: Header=BB4_760 Depth=3
	v_mov_b32_e32 v11, v60
	v_mov_b32_e32 v4, v0
	s_and_saveexec_b64 s[26:27], s[30:31]
	s_cbranch_execnz .LBB4_898
.LBB4_880:                              ;   in Loop: Header=BB4_760 Depth=3
	s_or_b64 exec, exec, s[26:27]
	s_and_saveexec_b64 s[26:27], s[10:11]
	s_cbranch_execnz .LBB4_836
.LBB4_881:                              ;   in Loop: Header=BB4_760 Depth=3
	s_or_b64 exec, exec, s[26:27]
                                        ; implicit-def: $vgpr2
	s_and_saveexec_b64 s[26:27], s[24:25]
	s_xor_b64 s[28:29], exec, s[26:27]
	s_cbranch_execz .LBB4_914
.LBB4_882:                              ;   in Loop: Header=BB4_760 Depth=3
	v_and_b32_e32 v3, 16, v62
	v_cmp_lt_i32_e32 vcc, 0, v15
	v_cmp_ne_u32_e64 s[26:27], 0, v3
	v_and_b32_e32 v2, 16, v62
	s_and_b64 vcc, s[26:27], vcc
	s_and_saveexec_b64 s[26:27], vcc
	s_cbranch_execz .LBB4_884
; %bb.883:                              ;   in Loop: Header=BB4_760 Depth=3
	v_mov_b32_e32 v2, 1
	s_waitcnt vmcnt(0) lgkmcnt(0)
	buffer_wbinvl1_vol
.LBB4_884:                              ;   in Loop: Header=BB4_760 Depth=3
	s_or_b64 exec, exec, s[26:27]
	s_andn2_saveexec_b64 s[26:27], s[28:29]
	s_cbranch_execz .LBB4_933
	s_branch .LBB4_915
.LBB4_885:                              ;   in Loop: Header=BB4_760 Depth=3
	v_ashrrev_i32_e32 v2, 31, v17
	v_lshrrev_b32_e32 v2, 21, v2
	v_add_u32_e32 v2, v17, v2
	v_ashrrev_i32_e32 v8, 11, v2
	v_sub_u32_e32 v9, v8, v0
	v_cmp_lt_i32_e32 vcc, 0, v9
	s_and_saveexec_b64 s[26:27], vcc
	s_cbranch_execz .LBB4_889
; %bb.886:                              ;   in Loop: Header=BB4_760 Depth=3
	s_trap 2
	ds_read_b64 v[2:3], v0
	v_accvgpr_read_b32 v4, a26
	s_mov_b64 s[28:29], 0
	v_accvgpr_read_b32 v5, a27
.LBB4_887:                              ;   Parent Loop BB4_47 Depth=1
                                        ;     Parent Loop BB4_757 Depth=2
                                        ;       Parent Loop BB4_760 Depth=3
                                        ; =>      This Inner Loop Header: Depth=4
	s_waitcnt lgkmcnt(0)
	v_add_co_u32_e32 v28, vcc, v2, v4
	v_addc_co_u32_e32 v29, vcc, v3, v5, vcc
	global_load_dwordx4 v[10:13], v[28:29], off glc slc
	global_load_dwordx4 v[22:25], v[28:29], off offset:1024 glc slc
	v_add_co_u32_e32 v4, vcc, v4, v58
	v_sub_u32_e32 v9, v9, v36
	v_addc_co_u32_e32 v5, vcc, v5, v59, vcc
	v_cmp_gt_i32_e32 vcc, 1, v9
	s_or_b64 s[28:29], vcc, s[28:29]
	s_waitcnt vmcnt(0)
	global_store_dwordx4 v[28:29], v[10:13], off glc slc
	global_store_dwordx4 v[28:29], v[22:25], off offset:1024 glc slc
	s_andn2_b64 exec, exec, s[28:29]
	s_cbranch_execnz .LBB4_887
; %bb.888:                              ;   in Loop: Header=BB4_760 Depth=3
	s_or_b64 exec, exec, s[28:29]
	v_accvgpr_read_b32 v28, a24
.LBB4_889:                              ;   in Loop: Header=BB4_760 Depth=3
	s_or_b64 exec, exec, s[26:27]
	v_lshlrev_b32_e32 v8, 11, v8
	v_cmp_ne_u32_e32 vcc, v17, v8
	s_mov_b64 s[30:31], 0
	v_mov_b32_e32 v10, 0
                                        ; implicit-def: $vgpr11
                                        ; implicit-def: $vgpr4
	s_and_saveexec_b64 s[28:29], vcc
	s_cbranch_execz .LBB4_897
; %bb.890:                              ;   in Loop: Header=BB4_760 Depth=3
	v_lshlrev_b32_e32 v3, 6, v9
	v_sub_u32_e32 v3, v57, v3
	v_ashrrev_i32_e32 v4, 31, v3
	v_lshrrev_b32_e32 v4, 26, v4
	v_add_u32_e32 v4, v3, v4
	v_ashrrev_i32_e32 v5, 6, v4
	v_and_b32_e32 v4, 0xffffffc0, v4
	v_sub_u32_e32 v9, v3, v4
	v_sub_u32_e32 v2, v17, v8
	v_lshlrev_b32_e32 v3, 4, v9
	v_lshl_add_u32 v4, v5, 10, v3
	v_ashrrev_i32_e32 v3, 31, v2
	v_lshrrev_b32_e32 v3, 22, v3
	v_add_u32_e32 v3, v2, v3
	v_and_b32_e32 v12, 0xfffffc00, v3
	v_sub_u32_e32 v21, v2, v12
	v_ashrrev_i32_e32 v7, 10, v3
	v_cmp_lt_i32_e32 vcc, 15, v21
	v_sub_u32_e32 v10, v2, v4
	v_addc_co_u32_e64 v2, s[26:27], 0, v7, vcc
	v_sub_u32_e32 v13, v2, v5
	v_cmp_lt_i32_e64 s[26:27], 15, v10
	s_and_saveexec_b64 s[30:31], s[26:27]
	s_cbranch_execz .LBB4_894
; %bb.891:                              ;   in Loop: Header=BB4_760 Depth=3
	s_trap 2
	ds_read_b64 v[2:3], v0
	v_add_u32_e32 v4, v4, v8
	v_ashrrev_i32_e32 v5, 31, v4
	s_mov_b64 s[34:35], 0
.LBB4_892:                              ;   Parent Loop BB4_47 Depth=1
                                        ;     Parent Loop BB4_757 Depth=2
                                        ;       Parent Loop BB4_760 Depth=3
                                        ; =>      This Inner Loop Header: Depth=4
	s_waitcnt lgkmcnt(0)
	v_add_co_u32_e64 v28, s[26:27], v2, v4
	v_addc_co_u32_e64 v29, s[26:27], v3, v5, s[26:27]
	global_load_dwordx4 v[22:25], v[28:29], off glc slc
	v_add_co_u32_e64 v4, s[26:27], v4, v31
	v_sub_u32_e32 v10, v10, v61
	v_addc_co_u32_e64 v5, s[26:27], v5, v1, s[26:27]
	v_cmp_gt_i32_e64 s[26:27], 16, v10
	v_sub_u32_e32 v13, v13, v36
	s_or_b64 s[34:35], s[26:27], s[34:35]
	s_waitcnt vmcnt(0)
	global_store_dwordx4 v[28:29], v[22:25], off glc slc
	s_andn2_b64 exec, exec, s[34:35]
	s_cbranch_execnz .LBB4_892
; %bb.893:                              ;   in Loop: Header=BB4_760 Depth=3
	s_or_b64 exec, exec, s[34:35]
	v_accvgpr_read_b32 v28, a24
.LBB4_894:                              ;   in Loop: Header=BB4_760 Depth=3
	s_or_b64 exec, exec, s[30:31]
	v_and_b32_e32 v2, 12, v17
	v_cndmask_b32_e32 v17, v21, v2, vcc
	v_cmp_ne_u32_e64 s[26:27], 0, v17
	s_mov_b64 s[30:31], 0
	v_mov_b32_e32 v10, 0
                                        ; implicit-def: $vgpr11
                                        ; implicit-def: $vgpr4
	s_and_saveexec_b64 s[34:35], s[26:27]
	s_cbranch_execz .LBB4_896
; %bb.895:                              ;   in Loop: Header=BB4_760 Depth=3
	v_sub_u32_e32 v2, v21, v2
	v_cndmask_b32_e32 v2, 0, v2, vcc
	v_cmp_lt_i32_e32 vcc, 0, v13
	v_add3_u32 v10, v12, v8, v2
	v_cndmask_b32_e32 v2, 0, v36, vcc
	v_sub_u32_e32 v2, v2, v13
	v_lshl_add_u32 v11, v2, 6, v9
	v_ashrrev_i32_e32 v2, 31, v11
	v_lshrrev_b32_e32 v2, 26, v2
	v_add_u32_e32 v2, v11, v2
	s_mov_b64 s[30:31], exec
	v_ashrrev_i32_e32 v4, 6, v2
.LBB4_896:                              ;   in Loop: Header=BB4_760 Depth=3
	s_or_b64 exec, exec, s[34:35]
	s_and_b64 s[30:31], s[30:31], exec
.LBB4_897:                              ;   in Loop: Header=BB4_760 Depth=3
	s_or_b64 exec, exec, s[28:29]
	s_and_saveexec_b64 s[26:27], s[30:31]
	s_cbranch_execz .LBB4_880
.LBB4_898:                              ;   in Loop: Header=BB4_760 Depth=3
	v_ashrrev_i32_e32 v2, 31, v17
	v_lshrrev_b32_e32 v2, 22, v2
	v_add_u32_e32 v2, v17, v2
	v_ashrrev_i32_e32 v13, 10, v2
	v_sub_u32_e32 v12, v13, v4
	v_cmp_lt_i32_e32 vcc, 0, v12
	s_and_saveexec_b64 s[28:29], vcc
	s_cbranch_execz .LBB4_902
; %bb.899:                              ;   in Loop: Header=BB4_760 Depth=3
	v_ashrrev_i32_e32 v5, 31, v11
	v_lshrrev_b32_e32 v5, 26, v5
	s_trap 2
	ds_read_b64 v[2:3], v0
	v_add_u32_e32 v5, v11, v5
	v_and_b32_e32 v5, 0x3fffffc0, v5
	v_sub_u32_e32 v5, v11, v5
	v_lshlrev_b32_e32 v5, 2, v5
	v_lshlrev_b32_e32 v4, 10, v4
	v_add3_u32 v4, v5, v10, v4
	v_ashrrev_i32_e32 v5, 31, v4
	s_mov_b64 s[30:31], 0
	s_waitcnt lgkmcnt(0)
	v_pk_mov_b32 v[8:9], v[2:3], v[2:3] op_sel:[0,1]
.LBB4_900:                              ;   Parent Loop BB4_47 Depth=1
                                        ;     Parent Loop BB4_757 Depth=2
                                        ;       Parent Loop BB4_760 Depth=3
                                        ; =>      This Inner Loop Header: Depth=4
	v_add_co_u32_e32 v22, vcc, v4, v8
	v_addc_co_u32_e32 v23, vcc, v5, v9, vcc
	flat_load_dword v7, v[22:23] glc slc
	flat_load_dword v21, v[22:23] offset:256 glc slc
	flat_load_dword v24, v[22:23] offset:512 glc slc
	;; [unrolled: 1-line block ×3, first 2 shown]
	v_add_co_u32_e32 v22, vcc, v4, v2
	v_addc_co_u32_e32 v23, vcc, v5, v3, vcc
	v_add_co_u32_e32 v8, vcc, v8, v31
	v_addc_co_u32_e32 v9, vcc, v9, v1, vcc
	v_add_co_u32_e32 v2, vcc, v2, v31
	v_sub_u32_e32 v12, v12, v36
	v_addc_co_u32_e32 v3, vcc, v3, v1, vcc
	v_cmp_gt_i32_e32 vcc, 1, v12
	s_or_b64 s[30:31], vcc, s[30:31]
	s_waitcnt vmcnt(0) lgkmcnt(0)
	flat_store_dword v[22:23], v7 glc slc
	flat_store_dword v[22:23], v21 offset:256 glc slc
	flat_store_dword v[22:23], v24 offset:512 glc slc
	;; [unrolled: 1-line block ×3, first 2 shown]
	s_andn2_b64 exec, exec, s[30:31]
	s_cbranch_execnz .LBB4_900
; %bb.901:                              ;   in Loop: Header=BB4_760 Depth=3
	s_or_b64 exec, exec, s[30:31]
.LBB4_902:                              ;   in Loop: Header=BB4_760 Depth=3
	s_or_b64 exec, exec, s[28:29]
	v_lshlrev_b32_e32 v2, 10, v13
	v_cmp_ne_u32_e32 vcc, v17, v2
	s_and_saveexec_b64 s[28:29], vcc
	s_cbranch_execz .LBB4_906
; %bb.903:                              ;   in Loop: Header=BB4_760 Depth=3
	v_ashrrev_i32_e32 v3, 31, v11
	v_lshrrev_b32_e32 v3, 26, v3
	v_add_u32_e32 v3, v11, v3
	v_and_b32_e32 v3, 0xffffffc0, v3
	v_sub_u32_e32 v3, v11, v3
	v_lshlrev_b32_e32 v4, 6, v12
	v_sub_u32_e32 v3, v3, v4
	v_ashrrev_i32_e32 v4, 31, v3
	v_lshrrev_b32_e32 v4, 26, v4
	v_add_u32_e32 v4, v3, v4
	v_and_b32_e32 v5, 0x3fffffc0, v4
	v_sub_u32_e32 v3, v3, v5
	v_lshlrev_b32_e32 v4, 2, v4
	v_and_b32_e32 v4, 0xffffff00, v4
	v_lshlrev_b32_e32 v3, 2, v3
	v_add3_u32 v4, v4, v3, v2
	v_sub_u32_e32 v8, v17, v4
	v_cmp_lt_i32_e32 vcc, 3, v8
	s_and_b64 exec, exec, vcc
	s_cbranch_execz .LBB4_906
; %bb.904:                              ;   in Loop: Header=BB4_760 Depth=3
	s_trap 2
	ds_read_b64 v[2:3], v0
	v_add_u32_e32 v4, v4, v10
	v_ashrrev_i32_e32 v5, 31, v4
	s_mov_b64 s[30:31], 0
.LBB4_905:                              ;   Parent Loop BB4_47 Depth=1
                                        ;     Parent Loop BB4_757 Depth=2
                                        ;       Parent Loop BB4_760 Depth=3
                                        ; =>      This Inner Loop Header: Depth=4
	s_waitcnt lgkmcnt(0)
	v_add_co_u32_e32 v10, vcc, v2, v4
	v_addc_co_u32_e32 v11, vcc, v3, v5, vcc
	flat_load_dword v7, v[10:11] glc slc
	v_add_co_u32_e32 v4, vcc, v4, v42
	v_sub_u32_e32 v8, v8, v37
	v_addc_co_u32_e32 v5, vcc, v5, v43, vcc
	v_cmp_gt_i32_e32 vcc, 4, v8
	s_or_b64 s[30:31], vcc, s[30:31]
	s_waitcnt vmcnt(0) lgkmcnt(0)
	flat_store_dword v[10:11], v7 glc slc
	s_andn2_b64 exec, exec, s[30:31]
	s_cbranch_execnz .LBB4_905
.LBB4_906:                              ;   in Loop: Header=BB4_760 Depth=3
	s_or_b64 exec, exec, s[28:29]
	s_or_b64 exec, exec, s[26:27]
	s_and_saveexec_b64 s[26:27], s[10:11]
	s_cbranch_execnz .LBB4_836
	s_branch .LBB4_881
.LBB4_907:                              ;   in Loop: Header=BB4_760 Depth=3
	s_or_b64 exec, exec, s[42:43]
	s_and_saveexec_b64 vcc, s[44:45]
	s_xor_b64 vcc, exec, vcc
	s_cbranch_execz .LBB4_909
; %bb.908:                              ;   in Loop: Header=BB4_760 Depth=3
	ds_write_b32 v0, v46
	s_trap 2
.LBB4_909:                              ;   in Loop: Header=BB4_760 Depth=3
	s_or_b64 exec, exec, s[34:35]
	;;#ASMSTART
	s_wakeup
	;;#ASMEND
.LBB4_910:                              ;   in Loop: Header=BB4_760 Depth=3
	s_or_b64 exec, exec, s[30:31]
.LBB4_911:                              ;   in Loop: Header=BB4_760 Depth=3
	s_andn2_saveexec_b64 s[28:29], s[28:29]
	s_cbranch_execz .LBB4_913
; %bb.912:                              ;   in Loop: Header=BB4_760 Depth=3
	s_waitcnt vmcnt(0) lgkmcnt(0)
	buffer_wbinvl1_vol
	s_barrier
.LBB4_913:                              ;   in Loop: Header=BB4_760 Depth=3
	s_or_b64 exec, exec, s[28:29]
	s_or_b64 exec, exec, s[26:27]
                                        ; implicit-def: $vgpr2
	s_and_saveexec_b64 s[26:27], s[24:25]
	s_xor_b64 s[28:29], exec, s[26:27]
	s_cbranch_execnz .LBB4_882
.LBB4_914:                              ;   in Loop: Header=BB4_760 Depth=3
	s_andn2_saveexec_b64 s[26:27], s[28:29]
	s_cbranch_execz .LBB4_933
.LBB4_915:                              ;   in Loop: Header=BB4_760 Depth=3
	s_and_saveexec_b64 s[28:29], s[52:53]
	s_xor_b64 s[28:29], exec, s[28:29]
	s_cbranch_execz .LBB4_930
; %bb.916:                              ;   in Loop: Header=BB4_760 Depth=3
	s_and_saveexec_b64 s[30:31], s[16:17]
	s_cbranch_execz .LBB4_929
; %bb.917:                              ;   in Loop: Header=BB4_760 Depth=3
	s_mov_b64 s[42:43], exec
	v_mbcnt_lo_u32_b32 v2, s42, 0
	v_mbcnt_hi_u32_b32 v2, s43, v2
	v_cmp_eq_u32_e32 vcc, 0, v2
	;;#ASMSTART
	s_waitcnt lgkmcnt(0) vmcnt(0)
	;;#ASMEND
	s_and_saveexec_b64 s[34:35], vcc
	s_cbranch_execz .LBB4_919
; %bb.918:                              ;   in Loop: Header=BB4_760 Depth=3
	s_bcnt1_i32_b64 vcc_lo, s[42:43]
	v_mov_b32_e32 v2, vcc_lo
	v_mov_b32_e32 v3, v6
	ds_add_u64 v0, v[2:3]
	s_trap 2
.LBB4_919:                              ;   in Loop: Header=BB4_760 Depth=3
	s_or_b64 exec, exec, s[34:35]
	s_trap 2
	ds_read_b64 v[2:3], v0
	v_add_co_u32_e32 v48, vcc, v48, v36
	v_addc_co_u32_e32 v49, vcc, 0, v49, vcc
	s_waitcnt lgkmcnt(0)
	v_cmp_lt_u64_e32 vcc, v[2:3], v[48:49]
	s_and_saveexec_b64 s[34:35], vcc
	s_cbranch_execz .LBB4_928
; %bb.920:                              ;   in Loop: Header=BB4_760 Depth=3
	s_mov_b32 s68, 0
	s_mov_b64 s[42:43], 0
                                        ; implicit-def: $sgpr44_sgpr45
                                        ; implicit-def: $sgpr60_sgpr61
	s_branch .LBB4_922
.LBB4_921:                              ;   in Loop: Header=BB4_922 Depth=4
	s_or_b64 exec, exec, s[64:65]
	s_and_b64 vcc, exec, vcc
	s_or_b64 s[42:43], vcc, s[42:43]
	s_andn2_b64 vcc, s[44:45], exec
	s_and_b64 s[44:45], s[60:61], exec
	s_or_b64 s[44:45], vcc, s[44:45]
	s_andn2_b64 exec, exec, s[42:43]
	s_cbranch_execz .LBB4_926
.LBB4_922:                              ;   Parent Loop BB4_47 Depth=1
                                        ;     Parent Loop BB4_757 Depth=2
                                        ;       Parent Loop BB4_760 Depth=3
                                        ; =>      This Inner Loop Header: Depth=4
	s_add_i32 s68, s68, 1
	s_cmpk_lg_i32 s68, 0x2710
	s_cselect_b64 s[62:63], -1, 0
	s_and_b64 vcc, exec, s[62:63]
                                        ; implicit-def: $sgpr64_sgpr65
	s_cbranch_vccnz .LBB4_924
; %bb.923:                              ;   in Loop: Header=BB4_922 Depth=4
	s_trap 2
	ds_read_b64 v[2:3], v0
	s_andn2_b64 s[62:63], s[62:63], exec
	s_mov_b32 s68, 0
	s_mov_b64 s[64:65], -1
	s_waitcnt vmcnt(0) lgkmcnt(0)
	flat_load_dword v2, v[2:3] glc
	s_waitcnt vmcnt(0) lgkmcnt(0)
	buffer_invl2
	buffer_wbinvl1_vol
	v_cmp_eq_u32_e32 vcc, 0, v2
	s_and_b64 vcc, vcc, exec
	s_or_b64 s[62:63], s[62:63], vcc
.LBB4_924:                              ;   in Loop: Header=BB4_922 Depth=4
	s_andn2_b64 s[60:61], s[60:61], exec
	s_and_b64 s[64:65], s[64:65], exec
	s_mov_b64 vcc, -1
	s_or_b64 s[60:61], s[60:61], s[64:65]
	s_and_saveexec_b64 s[64:65], s[62:63]
	s_cbranch_execz .LBB4_921
; %bb.925:                              ;   in Loop: Header=BB4_922 Depth=4
	s_sleep 1
	s_trap 2
	ds_read_b64 v[2:3], v0
	s_andn2_b64 s[60:61], s[60:61], exec
	s_waitcnt lgkmcnt(0)
	v_cmp_ge_u64_e32 vcc, v[2:3], v[48:49]
	s_orn2_b64 vcc, vcc, exec
	s_branch .LBB4_921
.LBB4_926:                              ;   in Loop: Header=BB4_760 Depth=3
	s_or_b64 exec, exec, s[42:43]
	s_and_saveexec_b64 vcc, s[44:45]
	s_xor_b64 vcc, exec, vcc
	s_cbranch_execz .LBB4_928
; %bb.927:                              ;   in Loop: Header=BB4_760 Depth=3
	ds_write_b32 v0, v46
	s_trap 2
.LBB4_928:                              ;   in Loop: Header=BB4_760 Depth=3
	s_or_b64 exec, exec, s[34:35]
	;;#ASMSTART
	s_wakeup
	;;#ASMEND
.LBB4_929:                              ;   in Loop: Header=BB4_760 Depth=3
	s_or_b64 exec, exec, s[30:31]
.LBB4_930:                              ;   in Loop: Header=BB4_760 Depth=3
	s_andn2_saveexec_b64 s[28:29], s[28:29]
	s_cbranch_execz .LBB4_932
; %bb.931:                              ;   in Loop: Header=BB4_760 Depth=3
	;;#ASMSTART
	s_waitcnt lgkmcnt(0) vmcnt(0)
	;;#ASMEND
	s_barrier
.LBB4_932:                              ;   in Loop: Header=BB4_760 Depth=3
	s_or_b64 exec, exec, s[28:29]
	v_and_b32_e32 v2, 16, v62
.LBB4_933:                              ;   in Loop: Header=BB4_760 Depth=3
	s_or_b64 exec, exec, s[26:27]
	v_cmp_ne_u32_e32 vcc, 0, v2
	s_xor_b64 s[26:27], s[12:13], -1
	s_and_b64 s[28:29], vcc, s[26:27]
	s_and_saveexec_b64 s[26:27], s[28:29]
	s_cbranch_execz .LBB4_935
; %bb.934:                              ;   in Loop: Header=BB4_760 Depth=3
	flat_store_dword v[38:39], v46
.LBB4_935:                              ;   in Loop: Header=BB4_760 Depth=3
	s_or_b64 exec, exec, s[26:27]
	v_and_b32_e32 v2, 48, v62
	v_cmp_ne_u32_e32 vcc, 0, v2
	s_and_saveexec_b64 s[26:27], vcc
	s_cbranch_execz .LBB4_759
; %bb.936:                              ;   in Loop: Header=BB4_760 Depth=3
	v_add_co_u32_e32 v32, vcc, 2, v32
	v_addc_co_u32_e32 v33, vcc, 0, v33, vcc
	flat_store_dwordx2 v[34:35], v[32:33]
	s_branch .LBB4_759
.LBB4_937:                              ;   in Loop: Header=BB4_757 Depth=2
	s_or_b64 exec, exec, s[36:37]
	v_cmp_gt_i32_e32 vcc, 2, v4
	s_and_saveexec_b64 s[28:29], vcc
	s_cbranch_execz .LBB4_1013
.LBB4_938:                              ;   in Loop: Header=BB4_757 Depth=2
	v_cmp_eq_u32_e64 s[26:27], 0, v4
	s_mov_b64 s[30:31], 0
	s_branch .LBB4_940
.LBB4_939:                              ;   in Loop: Header=BB4_940 Depth=3
	s_or_b64 exec, exec, s[26:27]
	v_add_u32_e32 v16, v14, v16
	s_mov_b64 s[26:27], 0
	s_andn2_b64 exec, exec, s[30:31]
	s_cbranch_execz .LBB4_1014
.LBB4_940:                              ;   Parent Loop BB4_47 Depth=1
                                        ;     Parent Loop BB4_757 Depth=2
                                        ; =>    This Loop Header: Depth=3
                                        ;         Child Loop BB4_946 Depth 4
                                        ;         Child Loop BB4_978 Depth 4
	;; [unrolled: 1-line block ×3, first 2 shown]
	v_and_b32_e32 v2, 12, v62
	s_mov_b64 s[36:37], -1
	v_cmp_ne_u32_e32 vcc, 0, v2
	s_and_saveexec_b64 s[34:35], vcc
	s_cbranch_execz .LBB4_952
; %bb.941:                              ;   in Loop: Header=BB4_940 Depth=3
	v_and_b32_e32 v2, 8, v62
	v_add_co_u32_e32 v8, vcc, v50, v2
	v_addc_co_u32_e32 v9, vcc, 0, v51, vcc
	v_add_co_u32_e32 v4, vcc, 2, v32
	v_addc_co_u32_e32 v5, vcc, 0, v33, vcc
	v_cmp_lt_u64_e32 vcc, v[8:9], v[4:5]
	v_mov_b32_e32 v3, 1
	s_and_saveexec_b64 s[36:37], vcc
	s_cbranch_execz .LBB4_951
; %bb.942:                              ;   in Loop: Header=BB4_940 Depth=3
	s_mov_b64 s[38:39], 0
	v_mov_b32_e32 v3, 0
                                        ; implicit-def: $sgpr40_sgpr41
	s_branch .LBB4_946
.LBB4_943:                              ;   in Loop: Header=BB4_946 Depth=4
	s_or_b64 exec, exec, s[62:63]
	v_mov_b32_e32 v8, 0
	s_orn2_b64 s[60:61], s[60:61], exec
.LBB4_944:                              ;   in Loop: Header=BB4_946 Depth=4
	s_or_b64 exec, exec, s[44:45]
	s_andn2_b64 vcc, s[40:41], exec
	s_and_b64 s[40:41], s[60:61], exec
	s_or_b64 s[40:41], vcc, s[40:41]
	v_mov_b32_e32 v3, v8
.LBB4_945:                              ;   in Loop: Header=BB4_946 Depth=4
	s_or_b64 exec, exec, s[42:43]
	s_waitcnt vmcnt(0) lgkmcnt(0)
	v_add_co_u32_e32 v8, vcc, v50, v2
	v_addc_co_u32_e32 v9, vcc, 0, v51, vcc
	v_cmp_ge_u64_e32 vcc, v[8:9], v[4:5]
	s_xor_b64 s[42:43], s[40:41], -1
	s_or_b64 vcc, s[42:43], vcc
	s_and_b64 vcc, exec, vcc
	s_or_b64 s[38:39], vcc, s[38:39]
	s_andn2_b64 exec, exec, s[38:39]
	s_cbranch_execz .LBB4_950
.LBB4_946:                              ;   Parent Loop BB4_47 Depth=1
                                        ;     Parent Loop BB4_757 Depth=2
                                        ;       Parent Loop BB4_940 Depth=3
                                        ; =>      This Inner Loop Header: Depth=4
	s_sleep 1
	flat_load_dwordx2 v[50:51], v[34:35] glc
	v_and_b32_e32 v7, 64, v62
	v_cmp_eq_u32_e32 vcc, 0, v7
	s_andn2_b64 s[40:41], s[40:41], exec
	s_and_saveexec_b64 s[42:43], vcc
	s_cbranch_execz .LBB4_945
; %bb.947:                              ;   in Loop: Header=BB4_946 Depth=4
	v_add_u32_e32 v8, 1, v3
	v_cmp_lt_i32_e32 vcc, s83, v3
	s_mov_b64 s[60:61], -1
	s_and_saveexec_b64 s[44:45], vcc
	s_cbranch_execz .LBB4_944
; %bb.948:                              ;   in Loop: Header=BB4_946 Depth=4
	s_trap 2
	ds_read_b64 v[8:9], v0
	s_waitcnt vmcnt(0) lgkmcnt(0)
	flat_load_dword v3, v[8:9] glc
	s_waitcnt vmcnt(0) lgkmcnt(0)
	buffer_invl2
	buffer_wbinvl1_vol
	v_cmp_ne_u32_e32 vcc, 0, v3
	s_and_saveexec_b64 s[62:63], vcc
	s_cbranch_execz .LBB4_943
; %bb.949:                              ;   in Loop: Header=BB4_946 Depth=4
	v_or_b32_e32 v62, 64, v62
	s_xor_b64 s[60:61], exec, -1
	ds_write_b32 v0, v3
	s_trap 2
	s_branch .LBB4_943
.LBB4_950:                              ;   in Loop: Header=BB4_940 Depth=3
	s_or_b64 exec, exec, s[38:39]
	v_and_b32_e32 v3, 12, v62
.LBB4_951:                              ;   in Loop: Header=BB4_940 Depth=3
	s_or_b64 exec, exec, s[36:37]
	v_cmp_eq_u32_e32 vcc, 0, v3
	s_orn2_b64 s[36:37], vcc, exec
	;;#ASMSTART
	s_wakeup
	;;#ASMEND
.LBB4_952:                              ;   in Loop: Header=BB4_940 Depth=3
	s_or_b64 exec, exec, s[34:35]
	s_xor_b64 s[26:27], s[26:27], -1
	s_and_b64 s[26:27], exec, s[26:27]
	s_or_b64 s[30:31], s[26:27], s[30:31]
	v_sub_u32_e32 v2, v20, v16
	s_xor_b64 s[26:27], s[36:37], -1
	v_min_i32_e32 v14, v14, v2
	s_and_saveexec_b64 s[34:35], s[26:27]
	s_cbranch_execz .LBB4_970
; %bb.953:                              ;   in Loop: Header=BB4_940 Depth=3
	v_and_b32_e32 v2, 0x108, v62
	v_cmp_ne_u32_e32 vcc, s84, v2
	v_and_b32_e32 v2, 7, v32
	s_and_saveexec_b64 s[26:27], vcc
	s_xor_b64 s[26:27], exec, s[26:27]
                                        ; implicit-def: $vgpr4_vgpr5
; %bb.954:                              ;   in Loop: Header=BB4_940 Depth=3
	v_mov_b32_e32 v5, v6
; %bb.955:                              ;   in Loop: Header=BB4_940 Depth=3
	s_andn2_saveexec_b64 s[26:27], s[26:27]
	s_cbranch_execz .LBB4_957
; %bb.956:                              ;   in Loop: Header=BB4_940 Depth=3
	v_ashrrev_i32_e32 v15, 31, v14
	v_mov_b32_e32 v5, v6
	v_mad_u64_u32 v[8:9], vcc, v2, 24, v[44:45]
	v_lshlrev_b64 v[10:11], 2, v[14:15]
	flat_store_dwordx2 v[8:9], v[10:11] offset:8
.LBB4_957:                              ;   in Loop: Header=BB4_940 Depth=3
	s_or_b64 exec, exec, s[26:27]
	v_and_b32_e32 v3, 0x100, v62
	v_cmp_ne_u32_e32 vcc, 0, v3
	s_mov_b64 s[26:27], -1
                                        ; implicit-def: $vgpr8_vgpr9
	s_and_saveexec_b64 s[36:37], vcc
	s_cbranch_execz .LBB4_961
; %bb.958:                              ;   in Loop: Header=BB4_940 Depth=3
	v_mad_u64_u32 v[10:11], s[26:27], v2, 24, v[44:45]
	v_mov_b32_e32 v4, v11
	v_mad_u64_u32 v[8:9], s[26:27], v5, 24, v[4:5]
	v_mov_b32_e32 v11, v8
	flat_load_dword v3, v[10:11]
                                        ; implicit-def: $vgpr8_vgpr9
	s_waitcnt vmcnt(0) lgkmcnt(0)
	v_cmp_ne_u32_e32 vcc, 1, v3
	v_cmp_eq_u32_e64 s[26:27], 1, v3
	s_and_saveexec_b64 s[38:39], s[26:27]
	s_cbranch_execz .LBB4_960
; %bb.959:                              ;   in Loop: Header=BB4_940 Depth=3
	flat_load_dword v8, v[10:11] offset:4 glc
	s_waitcnt vmcnt(0) lgkmcnt(0)
	v_ashrrev_i32_e32 v9, 31, v8
	v_lshrrev_b64 v[8:9], 2, v[8:9]
.LBB4_960:                              ;   in Loop: Header=BB4_940 Depth=3
	s_or_b64 exec, exec, s[38:39]
	s_orn2_b64 s[26:27], vcc, exec
.LBB4_961:                              ;   in Loop: Header=BB4_940 Depth=3
	s_or_b64 exec, exec, s[36:37]
	s_and_saveexec_b64 vcc, s[26:27]
; %bb.962:                              ;   in Loop: Header=BB4_940 Depth=3
	v_mul_lo_u32 v3, v5, v30
	v_mul_lo_u32 v4, v2, v47
	v_mad_u64_u32 v[8:9], s[26:27], v2, v30, 0
	v_add3_u32 v9, v9, v4, v3
; %bb.963:                              ;   in Loop: Header=BB4_940 Depth=3
	s_or_b64 exec, exec, vcc
	v_lshlrev_b64 v[2:3], 2, v[8:9]
	v_add_co_u32_e32 v2, vcc, v40, v2
	v_addc_co_u32_e32 v3, vcc, v41, v3, vcc
	s_trap 2
	ds_write_b64 v0, v[2:3]
	v_and_b32_e32 v2, 0x2000, v62
	v_cmp_ne_u32_e32 vcc, 0, v2
	s_and_saveexec_b64 s[26:27], vcc
	s_cbranch_execz .LBB4_965
; %bb.964:                              ;   in Loop: Header=BB4_940 Depth=3
	ds_read_b64 v[2:3], v0 offset:584
	s_waitcnt lgkmcnt(0)
	v_add_co_u32_e32 v2, vcc, 1, v2
	v_addc_co_u32_e32 v3, vcc, 0, v3, vcc
	ds_write_b64 v0, v[2:3] offset:584
.LBB4_965:                              ;   in Loop: Header=BB4_940 Depth=3
	s_or_b64 exec, exec, s[26:27]
	v_add_co_u32_e32 v32, vcc, 2, v32
	v_addc_co_u32_e32 v33, vcc, 0, v33, vcc
	s_or_b64 exec, exec, s[34:35]
	s_and_saveexec_b64 s[26:27], s[10:11]
	s_cbranch_execnz .LBB4_971
.LBB4_966:                              ;   in Loop: Header=BB4_940 Depth=3
	s_or_b64 exec, exec, s[26:27]
                                        ; implicit-def: $vgpr2
	s_and_saveexec_b64 s[26:27], s[24:25]
	s_xor_b64 s[26:27], exec, s[26:27]
	s_cbranch_execz .LBB4_989
.LBB4_967:                              ;   in Loop: Header=BB4_940 Depth=3
	s_trap 2
	ds_read_b32 v3, v0
	v_cmp_lt_i32_e32 vcc, 0, v14
	v_and_b32_e32 v4, 16, v62
	v_and_b32_e32 v2, 16, v62
	s_waitcnt lgkmcnt(0)
	v_readfirstlane_b32 s34, v3
	s_cmp_eq_u32 s34, 0
	s_cselect_b64 s[34:35], -1, 0
	s_and_b64 s[34:35], vcc, s[34:35]
	v_cmp_ne_u32_e32 vcc, 0, v4
	s_and_b64 s[34:35], vcc, s[34:35]
	s_and_saveexec_b64 vcc, s[34:35]
	s_cbranch_execz .LBB4_969
; %bb.968:                              ;   in Loop: Header=BB4_940 Depth=3
	v_mov_b32_e32 v2, 1
	s_waitcnt vmcnt(0)
	buffer_wbinvl1_vol
.LBB4_969:                              ;   in Loop: Header=BB4_940 Depth=3
	s_or_b64 exec, exec, vcc
	s_andn2_saveexec_b64 s[26:27], s[26:27]
	s_cbranch_execz .LBB4_1008
	s_branch .LBB4_990
.LBB4_970:                              ;   in Loop: Header=BB4_940 Depth=3
	s_or_b64 exec, exec, s[34:35]
	s_and_saveexec_b64 s[26:27], s[10:11]
	s_cbranch_execz .LBB4_966
.LBB4_971:                              ;   in Loop: Header=BB4_940 Depth=3
	s_and_saveexec_b64 vcc, s[52:53]
	s_xor_b64 s[34:35], exec, vcc
	s_cbranch_execz .LBB4_986
; %bb.972:                              ;   in Loop: Header=BB4_940 Depth=3
	s_and_saveexec_b64 s[36:37], s[16:17]
	s_cbranch_execz .LBB4_985
; %bb.973:                              ;   in Loop: Header=BB4_940 Depth=3
	s_mov_b64 s[40:41], exec
	v_mbcnt_lo_u32_b32 v2, s40, 0
	v_mbcnt_hi_u32_b32 v2, s41, v2
	v_cmp_eq_u32_e32 vcc, 0, v2
	s_waitcnt vmcnt(0) lgkmcnt(0)
	buffer_wbinvl1_vol
	s_and_saveexec_b64 s[38:39], vcc
	s_cbranch_execz .LBB4_975
; %bb.974:                              ;   in Loop: Header=BB4_940 Depth=3
	s_bcnt1_i32_b64 vcc_lo, s[40:41]
	v_mov_b32_e32 v2, vcc_lo
	v_mov_b32_e32 v3, v6
	ds_add_u64 v0, v[2:3]
	s_trap 2
.LBB4_975:                              ;   in Loop: Header=BB4_940 Depth=3
	s_or_b64 exec, exec, s[38:39]
	s_trap 2
	ds_read_b64 v[2:3], v0
	v_add_co_u32_e32 v48, vcc, v48, v36
	v_addc_co_u32_e32 v49, vcc, 0, v49, vcc
	s_waitcnt lgkmcnt(0)
	v_cmp_lt_u64_e32 vcc, v[2:3], v[48:49]
	s_and_saveexec_b64 s[38:39], vcc
	s_cbranch_execz .LBB4_984
; %bb.976:                              ;   in Loop: Header=BB4_940 Depth=3
	s_mov_b32 s64, 0
	s_mov_b64 s[40:41], 0
                                        ; implicit-def: $sgpr42_sgpr43
                                        ; implicit-def: $sgpr44_sgpr45
	s_branch .LBB4_978
.LBB4_977:                              ;   in Loop: Header=BB4_978 Depth=4
	s_or_b64 exec, exec, s[62:63]
	s_and_b64 vcc, exec, vcc
	s_or_b64 s[40:41], vcc, s[40:41]
	s_andn2_b64 vcc, s[42:43], exec
	s_and_b64 s[42:43], s[44:45], exec
	s_or_b64 s[42:43], vcc, s[42:43]
	s_andn2_b64 exec, exec, s[40:41]
	s_cbranch_execz .LBB4_982
.LBB4_978:                              ;   Parent Loop BB4_47 Depth=1
                                        ;     Parent Loop BB4_757 Depth=2
                                        ;       Parent Loop BB4_940 Depth=3
                                        ; =>      This Inner Loop Header: Depth=4
	s_add_i32 s64, s64, 1
	s_cmpk_lg_i32 s64, 0x2710
	s_cselect_b64 s[60:61], -1, 0
	s_and_b64 vcc, exec, s[60:61]
                                        ; implicit-def: $sgpr62_sgpr63
	s_cbranch_vccnz .LBB4_980
; %bb.979:                              ;   in Loop: Header=BB4_978 Depth=4
	s_trap 2
	ds_read_b64 v[2:3], v0
	s_andn2_b64 s[60:61], s[60:61], exec
	s_mov_b32 s64, 0
	s_mov_b64 s[62:63], -1
	s_waitcnt lgkmcnt(0)
	flat_load_dword v2, v[2:3] glc
	s_waitcnt vmcnt(0) lgkmcnt(0)
	buffer_invl2
	buffer_wbinvl1_vol
	v_cmp_eq_u32_e32 vcc, 0, v2
	s_and_b64 vcc, vcc, exec
	s_or_b64 s[60:61], s[60:61], vcc
.LBB4_980:                              ;   in Loop: Header=BB4_978 Depth=4
	s_andn2_b64 s[44:45], s[44:45], exec
	s_and_b64 s[62:63], s[62:63], exec
	s_mov_b64 vcc, -1
	s_or_b64 s[44:45], s[44:45], s[62:63]
	s_and_saveexec_b64 s[62:63], s[60:61]
	s_cbranch_execz .LBB4_977
; %bb.981:                              ;   in Loop: Header=BB4_978 Depth=4
	s_sleep 1
	s_trap 2
	ds_read_b64 v[2:3], v0
	s_andn2_b64 s[44:45], s[44:45], exec
	s_waitcnt lgkmcnt(0)
	v_cmp_ge_u64_e32 vcc, v[2:3], v[48:49]
	s_orn2_b64 vcc, vcc, exec
	s_branch .LBB4_977
.LBB4_982:                              ;   in Loop: Header=BB4_940 Depth=3
	s_or_b64 exec, exec, s[40:41]
	s_and_saveexec_b64 vcc, s[42:43]
	s_xor_b64 vcc, exec, vcc
	s_cbranch_execz .LBB4_984
; %bb.983:                              ;   in Loop: Header=BB4_940 Depth=3
	ds_write_b32 v0, v46
	s_trap 2
.LBB4_984:                              ;   in Loop: Header=BB4_940 Depth=3
	s_or_b64 exec, exec, s[38:39]
	;;#ASMSTART
	s_wakeup
	;;#ASMEND
.LBB4_985:                              ;   in Loop: Header=BB4_940 Depth=3
	s_or_b64 exec, exec, s[36:37]
.LBB4_986:                              ;   in Loop: Header=BB4_940 Depth=3
	s_andn2_saveexec_b64 vcc, s[34:35]
	s_cbranch_execz .LBB4_988
; %bb.987:                              ;   in Loop: Header=BB4_940 Depth=3
	s_waitcnt vmcnt(0) lgkmcnt(0)
	buffer_wbinvl1_vol
	s_barrier
.LBB4_988:                              ;   in Loop: Header=BB4_940 Depth=3
	s_or_b64 exec, exec, vcc
	s_or_b64 exec, exec, s[26:27]
                                        ; implicit-def: $vgpr2
	s_and_saveexec_b64 s[26:27], s[24:25]
	s_xor_b64 s[26:27], exec, s[26:27]
	s_cbranch_execnz .LBB4_967
.LBB4_989:                              ;   in Loop: Header=BB4_940 Depth=3
	s_andn2_saveexec_b64 s[26:27], s[26:27]
	s_cbranch_execz .LBB4_1008
.LBB4_990:                              ;   in Loop: Header=BB4_940 Depth=3
	s_and_saveexec_b64 vcc, s[52:53]
	s_xor_b64 s[34:35], exec, vcc
	s_cbranch_execz .LBB4_1005
; %bb.991:                              ;   in Loop: Header=BB4_940 Depth=3
	s_and_saveexec_b64 s[36:37], s[16:17]
	s_cbranch_execz .LBB4_1004
; %bb.992:                              ;   in Loop: Header=BB4_940 Depth=3
	s_mov_b64 s[40:41], exec
	v_mbcnt_lo_u32_b32 v2, s40, 0
	v_mbcnt_hi_u32_b32 v2, s41, v2
	v_cmp_eq_u32_e32 vcc, 0, v2
	;;#ASMSTART
	s_waitcnt lgkmcnt(0) vmcnt(0)
	;;#ASMEND
	s_and_saveexec_b64 s[38:39], vcc
	s_cbranch_execz .LBB4_994
; %bb.993:                              ;   in Loop: Header=BB4_940 Depth=3
	s_bcnt1_i32_b64 vcc_lo, s[40:41]
	v_mov_b32_e32 v2, vcc_lo
	v_mov_b32_e32 v3, v6
	ds_add_u64 v0, v[2:3]
	s_trap 2
.LBB4_994:                              ;   in Loop: Header=BB4_940 Depth=3
	s_or_b64 exec, exec, s[38:39]
	s_trap 2
	ds_read_b64 v[2:3], v0
	v_add_co_u32_e32 v48, vcc, v48, v36
	v_addc_co_u32_e32 v49, vcc, 0, v49, vcc
	s_waitcnt lgkmcnt(0)
	v_cmp_lt_u64_e32 vcc, v[2:3], v[48:49]
	s_and_saveexec_b64 s[38:39], vcc
	s_cbranch_execz .LBB4_1003
; %bb.995:                              ;   in Loop: Header=BB4_940 Depth=3
	s_mov_b32 s64, 0
	s_mov_b64 s[40:41], 0
                                        ; implicit-def: $sgpr42_sgpr43
                                        ; implicit-def: $sgpr44_sgpr45
	s_branch .LBB4_997
.LBB4_996:                              ;   in Loop: Header=BB4_997 Depth=4
	s_or_b64 exec, exec, s[62:63]
	s_and_b64 vcc, exec, vcc
	s_or_b64 s[40:41], vcc, s[40:41]
	s_andn2_b64 vcc, s[42:43], exec
	s_and_b64 s[42:43], s[44:45], exec
	s_or_b64 s[42:43], vcc, s[42:43]
	s_andn2_b64 exec, exec, s[40:41]
	s_cbranch_execz .LBB4_1001
.LBB4_997:                              ;   Parent Loop BB4_47 Depth=1
                                        ;     Parent Loop BB4_757 Depth=2
                                        ;       Parent Loop BB4_940 Depth=3
                                        ; =>      This Inner Loop Header: Depth=4
	s_add_i32 s64, s64, 1
	s_cmpk_lg_i32 s64, 0x2710
	s_cselect_b64 s[60:61], -1, 0
	s_and_b64 vcc, exec, s[60:61]
                                        ; implicit-def: $sgpr62_sgpr63
	s_cbranch_vccnz .LBB4_999
; %bb.998:                              ;   in Loop: Header=BB4_997 Depth=4
	s_trap 2
	ds_read_b64 v[2:3], v0
	s_andn2_b64 s[60:61], s[60:61], exec
	s_mov_b32 s64, 0
	s_mov_b64 s[62:63], -1
	s_waitcnt vmcnt(0) lgkmcnt(0)
	flat_load_dword v2, v[2:3] glc
	s_waitcnt vmcnt(0) lgkmcnt(0)
	buffer_invl2
	buffer_wbinvl1_vol
	v_cmp_eq_u32_e32 vcc, 0, v2
	s_and_b64 vcc, vcc, exec
	s_or_b64 s[60:61], s[60:61], vcc
.LBB4_999:                              ;   in Loop: Header=BB4_997 Depth=4
	s_andn2_b64 s[44:45], s[44:45], exec
	s_and_b64 s[62:63], s[62:63], exec
	s_mov_b64 vcc, -1
	s_or_b64 s[44:45], s[44:45], s[62:63]
	s_and_saveexec_b64 s[62:63], s[60:61]
	s_cbranch_execz .LBB4_996
; %bb.1000:                             ;   in Loop: Header=BB4_997 Depth=4
	s_sleep 1
	s_trap 2
	ds_read_b64 v[2:3], v0
	s_andn2_b64 s[44:45], s[44:45], exec
	s_waitcnt lgkmcnt(0)
	v_cmp_ge_u64_e32 vcc, v[2:3], v[48:49]
	s_orn2_b64 vcc, vcc, exec
	s_branch .LBB4_996
.LBB4_1001:                             ;   in Loop: Header=BB4_940 Depth=3
	s_or_b64 exec, exec, s[40:41]
	s_and_saveexec_b64 vcc, s[42:43]
	s_xor_b64 vcc, exec, vcc
	s_cbranch_execz .LBB4_1003
; %bb.1002:                             ;   in Loop: Header=BB4_940 Depth=3
	ds_write_b32 v0, v46
	s_trap 2
.LBB4_1003:                             ;   in Loop: Header=BB4_940 Depth=3
	s_or_b64 exec, exec, s[38:39]
	;;#ASMSTART
	s_wakeup
	;;#ASMEND
.LBB4_1004:                             ;   in Loop: Header=BB4_940 Depth=3
	s_or_b64 exec, exec, s[36:37]
.LBB4_1005:                             ;   in Loop: Header=BB4_940 Depth=3
	s_andn2_saveexec_b64 vcc, s[34:35]
	s_cbranch_execz .LBB4_1007
; %bb.1006:                             ;   in Loop: Header=BB4_940 Depth=3
	;;#ASMSTART
	s_waitcnt lgkmcnt(0) vmcnt(0)
	;;#ASMEND
	s_barrier
.LBB4_1007:                             ;   in Loop: Header=BB4_940 Depth=3
	s_or_b64 exec, exec, vcc
	v_and_b32_e32 v2, 16, v62
.LBB4_1008:                             ;   in Loop: Header=BB4_940 Depth=3
	s_or_b64 exec, exec, s[26:27]
	v_cmp_ne_u32_e32 vcc, 0, v2
	s_xor_b64 s[26:27], s[12:13], -1
	s_and_b64 vcc, vcc, s[26:27]
	s_and_saveexec_b64 s[26:27], vcc
	s_cbranch_execz .LBB4_1010
; %bb.1009:                             ;   in Loop: Header=BB4_940 Depth=3
	flat_store_dword v[38:39], v46
.LBB4_1010:                             ;   in Loop: Header=BB4_940 Depth=3
	s_or_b64 exec, exec, s[26:27]
	v_and_b32_e32 v2, 48, v62
	v_cmp_ne_u32_e32 vcc, 0, v2
	s_and_saveexec_b64 s[26:27], vcc
	s_cbranch_execz .LBB4_939
; %bb.1011:                             ;   in Loop: Header=BB4_940 Depth=3
	v_add_co_u32_e32 v32, vcc, 2, v32
	v_addc_co_u32_e32 v33, vcc, 0, v33, vcc
	flat_store_dwordx2 v[34:35], v[32:33]
	s_branch .LBB4_939
.LBB4_1012:                             ;   in Loop: Header=BB4_757 Depth=2
	s_or_b64 exec, exec, s[38:39]
	v_accvgpr_read_b32 v18, a18
	v_accvgpr_read_b32 v19, a19
	s_or_b64 exec, exec, s[36:37]
	v_cmp_gt_i32_e32 vcc, 2, v4
	s_and_saveexec_b64 s[28:29], vcc
	s_cbranch_execnz .LBB4_938
.LBB4_1013:                             ;   in Loop: Header=BB4_757 Depth=2
	s_or_b64 exec, exec, s[28:29]
	s_add_i32 s26, s66, 1
	s_cmp_eq_u32 s66, s82
	s_cbranch_scc0 .LBB4_1015
	s_branch .LBB4_1016
.LBB4_1014:                             ;   in Loop: Header=BB4_757 Depth=2
	s_or_b64 exec, exec, s[30:31]
	s_or_b64 exec, exec, s[28:29]
	s_add_i32 s26, s66, 1
	s_cmp_eq_u32 s66, s82
	s_cbranch_scc1 .LBB4_1016
.LBB4_1015:                             ;   in Loop: Header=BB4_757 Depth=2
	s_mov_b32 s66, s26
	s_branch .LBB4_757
.LBB4_1016:                             ;   in Loop: Header=BB4_47 Depth=1
	v_accvgpr_read_b32 v8, a30
	v_accvgpr_read_b32 v9, a31
	v_mul_lo_u32 v2, v9, s80
	v_mul_lo_u32 v3, v8, s81
	v_mad_u64_u32 v[4:5], s[26:27], v8, s80, 0
	v_add3_u32 v5, v5, v3, v2
	v_accvgpr_read_b32 v2, a32
	v_accvgpr_read_b32 v3, a33
	v_sub_co_u32_e32 v2, vcc, v2, v4
	v_subb_co_u32_e32 v3, vcc, v3, v5, vcc
	v_cmp_lt_i64_e32 vcc, v[8:9], v[2:3]
	v_cndmask_b32_e32 v2, v2, v8, vcc
	v_max_i32_e32 v14, 0, v2
	v_add_u32_e32 v3, 31, v14
	v_lshrrev_b32_e32 v3, 1, v3
	v_accvgpr_read_b32 v22, a28
	v_and_b32_e32 v3, 0x3ffffff0, v3
	v_cmp_lt_i32_e32 vcc, 0, v2
	v_accvgpr_read_b32 v23, a29
	v_max_i32_e32 v15, s79, v3
	s_and_b64 s[26:27], s[58:59], vcc
	v_mov_b32_e32 v3, 0
	v_mov_b32_e32 v2, 0
	s_and_saveexec_b64 s[28:29], s[26:27]
	s_cbranch_execz .LBB4_1156
; %bb.1017:                             ;   in Loop: Header=BB4_47 Depth=1
	v_accvgpr_read_b32 v2, a34
	v_accvgpr_read_b32 v3, a35
	v_add_co_u32_e32 v4, vcc, v4, v2
	v_addc_co_u32_e32 v5, vcc, v5, v3, vcc
	s_mov_b32 s66, 1
	s_mov_b64 s[34:35], -1
	s_mov_b64 s[30:31], 0
	v_mov_b32_e32 v2, 0
	v_lshlrev_b64 v[8:9], 2, v[4:5]
	s_branch .LBB4_1019
.LBB4_1018:                             ;   in Loop: Header=BB4_1019 Depth=2
	s_or_b64 exec, exec, s[26:27]
	v_add_u32_e32 v2, v15, v2
	v_cmp_ge_i32_e32 vcc, v2, v14
	s_xor_b64 s[26:27], s[34:35], -1
	s_or_b64 s[26:27], s[26:27], vcc
	s_and_b64 s[26:27], exec, s[26:27]
	s_or_b64 s[30:31], s[26:27], s[30:31]
	s_mov_b64 s[34:35], 0
	v_mov_b32_e32 v3, s66
	s_mov_b32 s66, 2
	s_andn2_b64 exec, exec, s[30:31]
	s_cbranch_execz .LBB4_1155
.LBB4_1019:                             ;   Parent Loop BB4_47 Depth=1
                                        ; =>  This Loop Header: Depth=2
                                        ;       Child Loop BB4_1027 Depth 3
                                        ;       Child Loop BB4_1051 Depth 3
	;; [unrolled: 1-line block ×9, first 2 shown]
	s_and_saveexec_b64 s[26:27], s[4:5]
	s_cbranch_execz .LBB4_1021
; %bb.1020:                             ;   in Loop: Header=BB4_1019 Depth=2
	s_trap 2
	ds_read_b128 v[10:13], v0
	v_ashrrev_i32_e32 v3, 31, v2
	v_lshlrev_b64 v[4:5], 2, v[2:3]
	s_waitcnt lgkmcnt(0)
	v_add_co_u32_e32 v7, vcc, v10, v8
	v_addc_co_u32_e32 v11, vcc, v11, v9, vcc
	v_add_co_u32_e32 v10, vcc, v7, v4
	v_addc_co_u32_e32 v11, vcc, v11, v5, vcc
	;; [unrolled: 2-line block ×4, first 2 shown]
	v_cmp_ne_u64_e32 vcc, 0, v[12:13]
	v_cndmask_b32_e32 v5, 0, v4, vcc
	v_cndmask_b32_e32 v4, 0, v3, vcc
	ds_write_b64 v0, v[10:11]
	ds_write_b64 v0, v[4:5]
.LBB4_1021:                             ;   in Loop: Header=BB4_1019 Depth=2
	s_or_b64 exec, exec, s[26:27]
	v_and_b32_e32 v3, 4, v62
	v_cmp_ne_u32_e32 vcc, 0, v3
	s_mov_b64 s[36:37], -1
	s_and_saveexec_b64 s[26:27], vcc
	s_cbranch_execz .LBB4_1031
; %bb.1022:                             ;   in Loop: Header=BB4_1019 Depth=2
	v_add_co_u32_e32 v4, vcc, 2, v32
	v_addc_co_u32_e32 v5, vcc, 0, v33, vcc
	v_cmp_lt_u64_e32 vcc, v[50:51], v[4:5]
	v_mov_b32_e32 v3, 1
	s_and_saveexec_b64 s[36:37], vcc
	s_cbranch_execz .LBB4_1042
; %bb.1023:                             ;   in Loop: Header=BB4_1019 Depth=2
	s_mov_b64 s[38:39], 0
	v_mov_b32_e32 v3, 0
                                        ; implicit-def: $sgpr40_sgpr41
	s_branch .LBB4_1027
.LBB4_1024:                             ;   in Loop: Header=BB4_1027 Depth=3
	s_or_b64 exec, exec, s[62:63]
	v_mov_b32_e32 v10, 0
	s_orn2_b64 s[60:61], s[60:61], exec
.LBB4_1025:                             ;   in Loop: Header=BB4_1027 Depth=3
	s_or_b64 exec, exec, s[44:45]
	s_andn2_b64 vcc, s[40:41], exec
	s_and_b64 s[40:41], s[60:61], exec
	s_or_b64 s[40:41], vcc, s[40:41]
	v_mov_b32_e32 v3, v10
.LBB4_1026:                             ;   in Loop: Header=BB4_1027 Depth=3
	s_or_b64 exec, exec, s[42:43]
	s_waitcnt vmcnt(0) lgkmcnt(0)
	v_cmp_ge_u64_e32 vcc, v[50:51], v[4:5]
	s_xor_b64 s[42:43], s[40:41], -1
	s_or_b64 vcc, s[42:43], vcc
	s_and_b64 vcc, exec, vcc
	s_or_b64 s[38:39], vcc, s[38:39]
	s_andn2_b64 exec, exec, s[38:39]
	s_cbranch_execz .LBB4_1041
.LBB4_1027:                             ;   Parent Loop BB4_47 Depth=1
                                        ;     Parent Loop BB4_1019 Depth=2
                                        ; =>    This Inner Loop Header: Depth=3
	s_sleep 1
	flat_load_dwordx2 v[50:51], v[34:35] glc
	v_and_b32_e32 v7, 64, v62
	v_cmp_eq_u32_e32 vcc, 0, v7
	s_andn2_b64 s[40:41], s[40:41], exec
	s_and_saveexec_b64 s[42:43], vcc
	s_cbranch_execz .LBB4_1026
; %bb.1028:                             ;   in Loop: Header=BB4_1027 Depth=3
	v_add_u32_e32 v10, 1, v3
	v_cmp_lt_i32_e32 vcc, s83, v3
	s_mov_b64 s[60:61], -1
	s_and_saveexec_b64 s[44:45], vcc
	s_cbranch_execz .LBB4_1025
; %bb.1029:                             ;   in Loop: Header=BB4_1027 Depth=3
	s_trap 2
	ds_read_b64 v[10:11], v0
	s_waitcnt vmcnt(0) lgkmcnt(0)
	flat_load_dword v3, v[10:11] glc
	s_waitcnt vmcnt(0) lgkmcnt(0)
	buffer_invl2
	buffer_wbinvl1_vol
	v_cmp_ne_u32_e32 vcc, 0, v3
	s_and_saveexec_b64 s[62:63], vcc
	s_cbranch_execz .LBB4_1024
; %bb.1030:                             ;   in Loop: Header=BB4_1027 Depth=3
	v_or_b32_e32 v62, 64, v62
	s_xor_b64 s[60:61], exec, -1
	ds_write_b32 v0, v3
	s_trap 2
	s_branch .LBB4_1024
.LBB4_1031:                             ;   in Loop: Header=BB4_1019 Depth=2
	s_or_b64 exec, exec, s[26:27]
	s_xor_b64 s[26:27], s[36:37], -1
	s_and_saveexec_b64 s[36:37], s[26:27]
	s_cbranch_execz .LBB4_1043
.LBB4_1032:                             ;   in Loop: Header=BB4_1019 Depth=2
	v_and_b32_e32 v3, 0x100, v62
	v_cmp_ne_u32_e32 vcc, 0, v3
	v_and_b32_e32 v3, 7, v32
	s_mov_b64 s[26:27], -1
                                        ; implicit-def: $vgpr4_vgpr5
	s_and_saveexec_b64 s[38:39], vcc
	s_cbranch_execz .LBB4_1036
; %bb.1033:                             ;   in Loop: Header=BB4_1019 Depth=2
	v_mad_u64_u32 v[10:11], s[26:27], v3, 24, v[44:45]
	flat_load_dword v4, v[10:11]
	s_waitcnt vmcnt(0) lgkmcnt(0)
	v_cmp_ne_u32_e32 vcc, 1, v4
	v_cmp_eq_u32_e64 s[26:27], 1, v4
                                        ; implicit-def: $vgpr4_vgpr5
	s_and_saveexec_b64 s[40:41], s[26:27]
	s_cbranch_execz .LBB4_1035
; %bb.1034:                             ;   in Loop: Header=BB4_1019 Depth=2
	flat_load_dword v4, v[10:11] offset:4 glc
	s_waitcnt vmcnt(0) lgkmcnt(0)
	v_ashrrev_i32_e32 v5, 31, v4
	v_lshrrev_b64 v[4:5], 2, v[4:5]
.LBB4_1035:                             ;   in Loop: Header=BB4_1019 Depth=2
	s_or_b64 exec, exec, s[40:41]
	s_orn2_b64 s[26:27], vcc, exec
.LBB4_1036:                             ;   in Loop: Header=BB4_1019 Depth=2
	s_or_b64 exec, exec, s[38:39]
	s_and_saveexec_b64 vcc, s[26:27]
; %bb.1037:                             ;   in Loop: Header=BB4_1019 Depth=2
	v_mad_i64_i32 v[4:5], s[26:27], v3, v30, 0
; %bb.1038:                             ;   in Loop: Header=BB4_1019 Depth=2
	s_or_b64 exec, exec, vcc
	v_lshlrev_b64 v[4:5], 2, v[4:5]
	v_add_co_u32_e32 v4, vcc, v40, v4
	v_addc_co_u32_e32 v5, vcc, v41, v5, vcc
	v_and_b32_e32 v3, 0x2000, v62
	v_cmp_ne_u32_e32 vcc, 0, v3
	ds_write_b64 v0, v[4:5] offset:720
	s_and_saveexec_b64 s[26:27], vcc
	s_cbranch_execz .LBB4_1040
; %bb.1039:                             ;   in Loop: Header=BB4_1019 Depth=2
	ds_read_b64 v[4:5], v0 offset:584
	s_waitcnt lgkmcnt(0)
	v_add_co_u32_e32 v4, vcc, 1, v4
	v_addc_co_u32_e32 v5, vcc, 0, v5, vcc
	ds_write_b64 v0, v[4:5] offset:584
.LBB4_1040:                             ;   in Loop: Header=BB4_1019 Depth=2
	s_or_b64 exec, exec, s[26:27]
	v_add_co_u32_e32 v32, vcc, 2, v32
	v_addc_co_u32_e32 v33, vcc, 0, v33, vcc
	s_or_b64 exec, exec, s[36:37]
	s_and_saveexec_b64 s[26:27], s[10:11]
	s_cbranch_execz .LBB4_1062
	s_branch .LBB4_1044
.LBB4_1041:                             ;   in Loop: Header=BB4_1019 Depth=2
	s_or_b64 exec, exec, s[38:39]
	v_and_b32_e32 v3, 4, v62
.LBB4_1042:                             ;   in Loop: Header=BB4_1019 Depth=2
	s_or_b64 exec, exec, s[36:37]
	v_cmp_eq_u32_e32 vcc, 0, v3
	s_orn2_b64 s[36:37], vcc, exec
	;;#ASMSTART
	s_wakeup
	;;#ASMEND
	s_or_b64 exec, exec, s[26:27]
	s_xor_b64 s[26:27], s[36:37], -1
	s_and_saveexec_b64 s[36:37], s[26:27]
	s_cbranch_execnz .LBB4_1032
.LBB4_1043:                             ;   in Loop: Header=BB4_1019 Depth=2
	s_or_b64 exec, exec, s[36:37]
	s_and_saveexec_b64 s[26:27], s[10:11]
	s_cbranch_execz .LBB4_1062
.LBB4_1044:                             ;   in Loop: Header=BB4_1019 Depth=2
	s_and_saveexec_b64 vcc, s[52:53]
	s_xor_b64 s[36:37], exec, vcc
	s_cbranch_execz .LBB4_1059
; %bb.1045:                             ;   in Loop: Header=BB4_1019 Depth=2
	s_and_saveexec_b64 s[38:39], s[16:17]
	s_cbranch_execz .LBB4_1058
; %bb.1046:                             ;   in Loop: Header=BB4_1019 Depth=2
	s_mov_b64 s[42:43], exec
	v_mbcnt_lo_u32_b32 v3, s42, 0
	v_mbcnt_hi_u32_b32 v3, s43, v3
	v_cmp_eq_u32_e32 vcc, 0, v3
	s_waitcnt vmcnt(0) lgkmcnt(0)
	buffer_wbinvl1_vol
	s_and_saveexec_b64 s[40:41], vcc
	s_cbranch_execz .LBB4_1048
; %bb.1047:                             ;   in Loop: Header=BB4_1019 Depth=2
	s_bcnt1_i32_b64 vcc_lo, s[42:43]
	v_mov_b32_e32 v4, vcc_lo
	v_mov_b32_e32 v5, v6
	ds_add_u64 v0, v[4:5]
	s_trap 2
.LBB4_1048:                             ;   in Loop: Header=BB4_1019 Depth=2
	s_or_b64 exec, exec, s[40:41]
	s_trap 2
	ds_read_b64 v[4:5], v0
	v_add_co_u32_e32 v48, vcc, v48, v36
	v_addc_co_u32_e32 v49, vcc, 0, v49, vcc
	s_waitcnt lgkmcnt(0)
	v_cmp_lt_u64_e32 vcc, v[4:5], v[48:49]
	s_and_saveexec_b64 s[40:41], vcc
	s_cbranch_execz .LBB4_1057
; %bb.1049:                             ;   in Loop: Header=BB4_1019 Depth=2
	s_mov_b32 s67, 0
	s_mov_b64 s[42:43], 0
                                        ; implicit-def: $sgpr44_sgpr45
                                        ; implicit-def: $sgpr60_sgpr61
	s_branch .LBB4_1051
.LBB4_1050:                             ;   in Loop: Header=BB4_1051 Depth=3
	s_or_b64 exec, exec, s[64:65]
	s_and_b64 vcc, exec, vcc
	s_or_b64 s[42:43], vcc, s[42:43]
	s_andn2_b64 vcc, s[44:45], exec
	s_and_b64 s[44:45], s[60:61], exec
	s_or_b64 s[44:45], vcc, s[44:45]
	s_andn2_b64 exec, exec, s[42:43]
	s_cbranch_execz .LBB4_1055
.LBB4_1051:                             ;   Parent Loop BB4_47 Depth=1
                                        ;     Parent Loop BB4_1019 Depth=2
                                        ; =>    This Inner Loop Header: Depth=3
	s_add_i32 s67, s67, 1
	s_cmpk_lg_i32 s67, 0x2710
	s_cselect_b64 s[62:63], -1, 0
	s_and_b64 vcc, exec, s[62:63]
                                        ; implicit-def: $sgpr64_sgpr65
	s_cbranch_vccnz .LBB4_1053
; %bb.1052:                             ;   in Loop: Header=BB4_1051 Depth=3
	s_trap 2
	ds_read_b64 v[4:5], v0
	s_andn2_b64 s[62:63], s[62:63], exec
	s_mov_b32 s67, 0
	s_mov_b64 s[64:65], -1
	s_waitcnt lgkmcnt(0)
	flat_load_dword v3, v[4:5] glc
	s_waitcnt vmcnt(0) lgkmcnt(0)
	buffer_invl2
	buffer_wbinvl1_vol
	v_cmp_eq_u32_e32 vcc, 0, v3
	s_and_b64 vcc, vcc, exec
	s_or_b64 s[62:63], s[62:63], vcc
.LBB4_1053:                             ;   in Loop: Header=BB4_1051 Depth=3
	s_andn2_b64 s[60:61], s[60:61], exec
	s_and_b64 s[64:65], s[64:65], exec
	s_mov_b64 vcc, -1
	s_or_b64 s[60:61], s[60:61], s[64:65]
	s_and_saveexec_b64 s[64:65], s[62:63]
	s_cbranch_execz .LBB4_1050
; %bb.1054:                             ;   in Loop: Header=BB4_1051 Depth=3
	s_sleep 1
	s_trap 2
	ds_read_b64 v[4:5], v0
	s_andn2_b64 s[60:61], s[60:61], exec
	s_waitcnt lgkmcnt(0)
	v_cmp_ge_u64_e32 vcc, v[4:5], v[48:49]
	s_orn2_b64 vcc, vcc, exec
	s_branch .LBB4_1050
.LBB4_1055:                             ;   in Loop: Header=BB4_1019 Depth=2
	s_or_b64 exec, exec, s[42:43]
	s_and_saveexec_b64 vcc, s[44:45]
	s_xor_b64 vcc, exec, vcc
	s_cbranch_execz .LBB4_1057
; %bb.1056:                             ;   in Loop: Header=BB4_1019 Depth=2
	ds_write_b32 v0, v46
	s_trap 2
.LBB4_1057:                             ;   in Loop: Header=BB4_1019 Depth=2
	s_or_b64 exec, exec, s[40:41]
	;;#ASMSTART
	s_wakeup
	;;#ASMEND
.LBB4_1058:                             ;   in Loop: Header=BB4_1019 Depth=2
	s_or_b64 exec, exec, s[38:39]
.LBB4_1059:                             ;   in Loop: Header=BB4_1019 Depth=2
	s_andn2_saveexec_b64 vcc, s[36:37]
	s_cbranch_execz .LBB4_1061
; %bb.1060:                             ;   in Loop: Header=BB4_1019 Depth=2
	s_waitcnt vmcnt(0) lgkmcnt(0)
	buffer_wbinvl1_vol
	s_barrier
.LBB4_1061:                             ;   in Loop: Header=BB4_1019 Depth=2
	s_or_b64 exec, exec, vcc
.LBB4_1062:                             ;   in Loop: Header=BB4_1019 Depth=2
	s_or_b64 exec, exec, s[26:27]
	s_trap 2
	ds_read_b32 v3, v0
	v_and_b32_e32 v4, 0x4000, v62
	v_cmp_ne_u32_e32 vcc, 0, v4
	s_xor_b64 s[26:27], s[6:7], -1
	s_and_b64 vcc, s[26:27], vcc
	s_and_saveexec_b64 s[26:27], vcc
	s_cbranch_execz .LBB4_1081
; %bb.1063:                             ;   in Loop: Header=BB4_1019 Depth=2
	s_and_saveexec_b64 vcc, s[52:53]
	s_xor_b64 s[36:37], exec, vcc
	s_cbranch_execz .LBB4_1078
; %bb.1064:                             ;   in Loop: Header=BB4_1019 Depth=2
	s_and_saveexec_b64 s[38:39], s[16:17]
	s_cbranch_execz .LBB4_1077
; %bb.1065:                             ;   in Loop: Header=BB4_1019 Depth=2
	s_mov_b64 s[42:43], exec
	v_mbcnt_lo_u32_b32 v4, s42, 0
	v_mbcnt_hi_u32_b32 v4, s43, v4
	v_cmp_eq_u32_e32 vcc, 0, v4
	s_waitcnt vmcnt(0) lgkmcnt(0)
	buffer_wbinvl1_vol
	s_and_saveexec_b64 s[40:41], vcc
	s_cbranch_execz .LBB4_1067
; %bb.1066:                             ;   in Loop: Header=BB4_1019 Depth=2
	s_bcnt1_i32_b64 vcc_lo, s[42:43]
	v_mov_b32_e32 v4, vcc_lo
	v_mov_b32_e32 v5, v6
	ds_add_u64 v0, v[4:5]
	s_trap 2
.LBB4_1067:                             ;   in Loop: Header=BB4_1019 Depth=2
	s_or_b64 exec, exec, s[40:41]
	s_trap 2
	ds_read_b64 v[4:5], v0
	v_add_co_u32_e32 v48, vcc, v48, v36
	v_addc_co_u32_e32 v49, vcc, 0, v49, vcc
	s_waitcnt lgkmcnt(0)
	v_cmp_lt_u64_e32 vcc, v[4:5], v[48:49]
	s_and_saveexec_b64 s[40:41], vcc
	s_cbranch_execz .LBB4_1076
; %bb.1068:                             ;   in Loop: Header=BB4_1019 Depth=2
	s_mov_b32 s67, 0
	s_mov_b64 s[42:43], 0
                                        ; implicit-def: $sgpr44_sgpr45
                                        ; implicit-def: $sgpr60_sgpr61
	s_branch .LBB4_1070
.LBB4_1069:                             ;   in Loop: Header=BB4_1070 Depth=3
	s_or_b64 exec, exec, s[64:65]
	s_and_b64 vcc, exec, vcc
	s_or_b64 s[42:43], vcc, s[42:43]
	s_andn2_b64 vcc, s[44:45], exec
	s_and_b64 s[44:45], s[60:61], exec
	s_or_b64 s[44:45], vcc, s[44:45]
	s_andn2_b64 exec, exec, s[42:43]
	s_cbranch_execz .LBB4_1074
.LBB4_1070:                             ;   Parent Loop BB4_47 Depth=1
                                        ;     Parent Loop BB4_1019 Depth=2
                                        ; =>    This Inner Loop Header: Depth=3
	s_add_i32 s67, s67, 1
	s_cmpk_lg_i32 s67, 0x2710
	s_cselect_b64 s[62:63], -1, 0
	s_and_b64 vcc, exec, s[62:63]
                                        ; implicit-def: $sgpr64_sgpr65
	s_cbranch_vccnz .LBB4_1072
; %bb.1071:                             ;   in Loop: Header=BB4_1070 Depth=3
	s_trap 2
	ds_read_b64 v[4:5], v0
	s_andn2_b64 s[62:63], s[62:63], exec
	s_mov_b32 s67, 0
	s_mov_b64 s[64:65], -1
	s_waitcnt lgkmcnt(0)
	flat_load_dword v4, v[4:5] glc
	s_waitcnt vmcnt(0) lgkmcnt(0)
	buffer_invl2
	buffer_wbinvl1_vol
	v_cmp_eq_u32_e32 vcc, 0, v4
	s_and_b64 vcc, vcc, exec
	s_or_b64 s[62:63], s[62:63], vcc
.LBB4_1072:                             ;   in Loop: Header=BB4_1070 Depth=3
	s_andn2_b64 s[60:61], s[60:61], exec
	s_and_b64 s[64:65], s[64:65], exec
	s_mov_b64 vcc, -1
	s_or_b64 s[60:61], s[60:61], s[64:65]
	s_and_saveexec_b64 s[64:65], s[62:63]
	s_cbranch_execz .LBB4_1069
; %bb.1073:                             ;   in Loop: Header=BB4_1070 Depth=3
	s_sleep 1
	s_trap 2
	ds_read_b64 v[4:5], v0
	s_andn2_b64 s[60:61], s[60:61], exec
	s_waitcnt lgkmcnt(0)
	v_cmp_ge_u64_e32 vcc, v[4:5], v[48:49]
	s_orn2_b64 vcc, vcc, exec
	s_branch .LBB4_1069
.LBB4_1074:                             ;   in Loop: Header=BB4_1019 Depth=2
	s_or_b64 exec, exec, s[42:43]
	s_and_saveexec_b64 vcc, s[44:45]
	s_xor_b64 vcc, exec, vcc
	s_cbranch_execz .LBB4_1076
; %bb.1075:                             ;   in Loop: Header=BB4_1019 Depth=2
	ds_write_b32 v0, v46
	s_trap 2
.LBB4_1076:                             ;   in Loop: Header=BB4_1019 Depth=2
	s_or_b64 exec, exec, s[40:41]
	;;#ASMSTART
	s_wakeup
	;;#ASMEND
.LBB4_1077:                             ;   in Loop: Header=BB4_1019 Depth=2
	s_or_b64 exec, exec, s[38:39]
.LBB4_1078:                             ;   in Loop: Header=BB4_1019 Depth=2
	s_andn2_saveexec_b64 vcc, s[36:37]
	s_cbranch_execz .LBB4_1080
; %bb.1079:                             ;   in Loop: Header=BB4_1019 Depth=2
	s_waitcnt vmcnt(0) lgkmcnt(0)
	buffer_wbinvl1_vol
	s_barrier
.LBB4_1080:                             ;   in Loop: Header=BB4_1019 Depth=2
	s_or_b64 exec, exec, vcc
.LBB4_1081:                             ;   in Loop: Header=BB4_1019 Depth=2
	s_or_b64 exec, exec, s[26:27]
	s_trap 2
	ds_read_b64 v[4:5], v0
	v_sub_u32_e32 v7, v14, v2
	v_min_i32_e32 v15, v15, v7
	v_mov_b32_e32 v16, 0
	s_waitcnt lgkmcnt(0)
	v_readfirstlane_b32 s26, v4
	v_readfirstlane_b32 s27, v5
	s_cmp_eq_u64 s[26:27], 0
	s_cselect_b64 s[26:27], -1, 0
	s_or_b64 s[26:27], s[26:27], s[26:27]
	s_and_b64 vcc, exec, s[26:27]
	s_cbranch_vccnz .LBB4_1088
; %bb.1082:                             ;   in Loop: Header=BB4_1019 Depth=2
	s_mov_b64 s[26:27], -1
	s_and_saveexec_b64 s[36:37], s[20:21]
	s_cbranch_execz .LBB4_1084
; %bb.1083:                             ;   in Loop: Header=BB4_1019 Depth=2
	ds_read_b32 v4, v0 offset:720
	s_waitcnt lgkmcnt(0)
	v_and_b32_e32 v4, 15, v4
	v_cmp_eq_u32_e32 vcc, 0, v4
	s_orn2_b64 s[26:27], vcc, exec
.LBB4_1084:                             ;   in Loop: Header=BB4_1019 Depth=2
	s_or_b64 exec, exec, s[36:37]
	s_and_saveexec_b64 s[36:37], s[18:19]
	s_cbranch_execz .LBB4_1086
; %bb.1085:                             ;   in Loop: Header=BB4_1019 Depth=2
	ds_read_b32 v4, v0 offset:784
	s_waitcnt lgkmcnt(0)
	v_and_b32_e32 v4, 15, v4
	v_cmp_eq_u32_e32 vcc, 0, v4
	s_and_b64 vcc, s[26:27], vcc
	s_andn2_b64 s[26:27], s[26:27], exec
	s_and_b64 vcc, vcc, exec
	s_or_b64 s[26:27], s[26:27], vcc
.LBB4_1086:                             ;   in Loop: Header=BB4_1019 Depth=2
	s_or_b64 exec, exec, s[36:37]
	v_cmp_eq_u32_e32 vcc, 0, v3
	s_xor_b64 s[26:27], s[26:27], -1
	v_cndmask_b32_e32 v16, 0, v15, vcc
	v_cndmask_b32_e64 v3, 0, 1, s[26:27]
	v_mov_b32_e32 v11, 0
	v_lshlrev_b32_e32 v17, 2, v16
	s_mov_b64 s[38:39], -1
	;;#ASMSTART
	;;#ASMEND
	v_cmp_ne_u32_e32 vcc, 0, v3
	s_cbranch_vccz .LBB4_1100
; %bb.1087:                             ;   in Loop: Header=BB4_1019 Depth=2
	v_mov_b32_e32 v18, v60
	v_mov_b32_e32 v3, v0
	s_and_saveexec_b64 s[26:27], s[38:39]
	s_cbranch_execnz .LBB4_1113
	s_branch .LBB4_1122
.LBB4_1088:                             ;   in Loop: Header=BB4_1019 Depth=2
	s_and_saveexec_b64 s[26:27], s[10:11]
	s_cbranch_execz .LBB4_1123
.LBB4_1089:                             ;   in Loop: Header=BB4_1019 Depth=2
	s_and_saveexec_b64 vcc, s[52:53]
	s_xor_b64 s[36:37], exec, vcc
	s_cbranch_execz .LBB4_1131
; %bb.1090:                             ;   in Loop: Header=BB4_1019 Depth=2
	s_and_saveexec_b64 s[38:39], s[16:17]
	s_cbranch_execz .LBB4_1130
; %bb.1091:                             ;   in Loop: Header=BB4_1019 Depth=2
	s_mov_b64 s[42:43], exec
	v_mbcnt_lo_u32_b32 v3, s42, 0
	v_mbcnt_hi_u32_b32 v3, s43, v3
	v_cmp_eq_u32_e32 vcc, 0, v3
	s_waitcnt vmcnt(0) lgkmcnt(0)
	buffer_wbinvl1_vol
	s_and_saveexec_b64 s[40:41], vcc
	s_cbranch_execz .LBB4_1093
; %bb.1092:                             ;   in Loop: Header=BB4_1019 Depth=2
	s_bcnt1_i32_b64 vcc_lo, s[42:43]
	v_mov_b32_e32 v4, vcc_lo
	v_mov_b32_e32 v5, v6
	ds_add_u64 v0, v[4:5]
	s_trap 2
.LBB4_1093:                             ;   in Loop: Header=BB4_1019 Depth=2
	s_or_b64 exec, exec, s[40:41]
	s_trap 2
	ds_read_b64 v[4:5], v0
	v_add_co_u32_e32 v48, vcc, v48, v36
	v_addc_co_u32_e32 v49, vcc, 0, v49, vcc
	s_waitcnt lgkmcnt(0)
	v_cmp_lt_u64_e32 vcc, v[4:5], v[48:49]
	s_and_saveexec_b64 s[40:41], vcc
	s_cbranch_execz .LBB4_1129
; %bb.1094:                             ;   in Loop: Header=BB4_1019 Depth=2
	s_mov_b32 s67, 0
	s_mov_b64 s[42:43], 0
                                        ; implicit-def: $sgpr44_sgpr45
                                        ; implicit-def: $sgpr60_sgpr61
	s_branch .LBB4_1096
.LBB4_1095:                             ;   in Loop: Header=BB4_1096 Depth=3
	s_or_b64 exec, exec, s[64:65]
	s_and_b64 vcc, exec, vcc
	s_or_b64 s[42:43], vcc, s[42:43]
	s_andn2_b64 vcc, s[44:45], exec
	s_and_b64 s[44:45], s[60:61], exec
	s_or_b64 s[44:45], vcc, s[44:45]
	s_andn2_b64 exec, exec, s[42:43]
	s_cbranch_execz .LBB4_1127
.LBB4_1096:                             ;   Parent Loop BB4_47 Depth=1
                                        ;     Parent Loop BB4_1019 Depth=2
                                        ; =>    This Inner Loop Header: Depth=3
	s_add_i32 s67, s67, 1
	s_cmpk_lg_i32 s67, 0x2710
	s_cselect_b64 s[62:63], -1, 0
	s_and_b64 vcc, exec, s[62:63]
                                        ; implicit-def: $sgpr64_sgpr65
	s_cbranch_vccnz .LBB4_1098
; %bb.1097:                             ;   in Loop: Header=BB4_1096 Depth=3
	s_trap 2
	ds_read_b64 v[4:5], v0
	s_andn2_b64 s[62:63], s[62:63], exec
	s_mov_b32 s67, 0
	s_mov_b64 s[64:65], -1
	s_waitcnt lgkmcnt(0)
	flat_load_dword v3, v[4:5] glc
	s_waitcnt vmcnt(0) lgkmcnt(0)
	buffer_invl2
	buffer_wbinvl1_vol
	v_cmp_eq_u32_e32 vcc, 0, v3
	s_and_b64 vcc, vcc, exec
	s_or_b64 s[62:63], s[62:63], vcc
.LBB4_1098:                             ;   in Loop: Header=BB4_1096 Depth=3
	s_andn2_b64 s[60:61], s[60:61], exec
	s_and_b64 s[64:65], s[64:65], exec
	s_mov_b64 vcc, -1
	s_or_b64 s[60:61], s[60:61], s[64:65]
	s_and_saveexec_b64 s[64:65], s[62:63]
	s_cbranch_execz .LBB4_1095
; %bb.1099:                             ;   in Loop: Header=BB4_1096 Depth=3
	s_sleep 1
	s_trap 2
	ds_read_b64 v[4:5], v0
	s_andn2_b64 s[60:61], s[60:61], exec
	s_waitcnt lgkmcnt(0)
	v_cmp_ge_u64_e32 vcc, v[4:5], v[48:49]
	s_orn2_b64 vcc, vcc, exec
	s_branch .LBB4_1095
.LBB4_1100:                             ;   in Loop: Header=BB4_1019 Depth=2
	v_ashrrev_i32_e32 v3, 31, v17
	v_lshrrev_b32_e32 v3, 21, v3
	v_add_u32_e32 v3, v17, v3
	v_ashrrev_i32_e32 v3, 11, v3
	v_sub_u32_e32 v13, v3, v0
	v_cmp_lt_i32_e32 vcc, 0, v13
	s_and_saveexec_b64 s[26:27], vcc
	s_cbranch_execz .LBB4_1104
; %bb.1101:                             ;   in Loop: Header=BB4_1019 Depth=2
	s_trap 2
	ds_read_b64 v[4:5], v0
	v_accvgpr_read_b32 v10, a26
	s_mov_b64 s[36:37], 0
	v_accvgpr_read_b32 v11, a27
.LBB4_1102:                             ;   Parent Loop BB4_47 Depth=1
                                        ;     Parent Loop BB4_1019 Depth=2
                                        ; =>    This Inner Loop Header: Depth=3
	s_waitcnt lgkmcnt(0)
	v_add_co_u32_e32 v28, vcc, v4, v10
	v_addc_co_u32_e32 v29, vcc, v5, v11, vcc
	global_load_dwordx4 v[18:21], v[28:29], off glc slc
	global_load_dwordx4 v[22:25], v[28:29], off offset:1024 glc slc
	v_add_co_u32_e32 v10, vcc, v10, v58
	v_sub_u32_e32 v13, v13, v36
	v_addc_co_u32_e32 v11, vcc, v11, v59, vcc
	v_cmp_gt_i32_e32 vcc, 1, v13
	s_or_b64 s[36:37], vcc, s[36:37]
	s_waitcnt vmcnt(0)
	global_store_dwordx4 v[28:29], v[18:21], off glc slc
	global_store_dwordx4 v[28:29], v[22:25], off offset:1024 glc slc
	s_andn2_b64 exec, exec, s[36:37]
	s_cbranch_execnz .LBB4_1102
; %bb.1103:                             ;   in Loop: Header=BB4_1019 Depth=2
	s_or_b64 exec, exec, s[36:37]
	v_accvgpr_read_b32 v22, a28
	v_accvgpr_read_b32 v23, a29
.LBB4_1104:                             ;   in Loop: Header=BB4_1019 Depth=2
	s_or_b64 exec, exec, s[26:27]
	v_lshlrev_b32_e32 v12, 11, v3
	v_cmp_ne_u32_e32 vcc, v17, v12
	s_mov_b64 s[38:39], 0
	v_mov_b32_e32 v11, 0
                                        ; implicit-def: $vgpr18
                                        ; implicit-def: $vgpr3
	s_and_saveexec_b64 s[36:37], vcc
	s_cbranch_execz .LBB4_1112
; %bb.1105:                             ;   in Loop: Header=BB4_1019 Depth=2
	v_lshlrev_b32_e32 v3, 6, v13
	v_sub_u32_e32 v3, v57, v3
	v_ashrrev_i32_e32 v5, 31, v3
	v_lshrrev_b32_e32 v5, 26, v5
	v_add_u32_e32 v5, v3, v5
	v_sub_u32_e32 v4, v17, v12
	v_ashrrev_i32_e32 v7, 6, v5
	v_and_b32_e32 v5, 0xffffffc0, v5
	v_sub_u32_e32 v13, v3, v5
	v_ashrrev_i32_e32 v5, 31, v4
	v_lshrrev_b32_e32 v5, 22, v5
	v_add_u32_e32 v5, v4, v5
	v_and_b32_e32 v19, 0xfffffc00, v5
	v_lshlrev_b32_e32 v3, 4, v13
	v_sub_u32_e32 v21, v4, v19
	v_lshl_add_u32 v3, v7, 10, v3
	v_ashrrev_i32_e32 v10, 10, v5
	v_cmp_lt_i32_e32 vcc, 15, v21
	v_sub_u32_e32 v11, v4, v3
	v_addc_co_u32_e64 v4, s[26:27], 0, v10, vcc
	v_sub_u32_e32 v20, v4, v7
	v_cmp_lt_i32_e64 s[26:27], 15, v11
	s_and_saveexec_b64 s[38:39], s[26:27]
	s_cbranch_execz .LBB4_1109
; %bb.1106:                             ;   in Loop: Header=BB4_1019 Depth=2
	s_trap 2
	ds_read_b64 v[4:5], v0
	v_add_u32_e32 v10, v3, v12
	v_ashrrev_i32_e32 v3, 31, v10
	s_mov_b64 s[40:41], 0
.LBB4_1107:                             ;   Parent Loop BB4_47 Depth=1
                                        ;     Parent Loop BB4_1019 Depth=2
                                        ; =>    This Inner Loop Header: Depth=3
	s_waitcnt lgkmcnt(0)
	v_add_co_u32_e64 v28, s[26:27], v4, v10
	v_addc_co_u32_e64 v29, s[26:27], v5, v3, s[26:27]
	global_load_dwordx4 v[22:25], v[28:29], off glc slc
	v_add_co_u32_e64 v10, s[26:27], v10, v31
	v_sub_u32_e32 v11, v11, v61
	v_addc_co_u32_e64 v3, s[26:27], v3, v1, s[26:27]
	v_cmp_gt_i32_e64 s[26:27], 16, v11
	v_sub_u32_e32 v20, v20, v36
	s_or_b64 s[40:41], s[26:27], s[40:41]
	s_waitcnt vmcnt(0)
	global_store_dwordx4 v[28:29], v[22:25], off glc slc
	s_andn2_b64 exec, exec, s[40:41]
	s_cbranch_execnz .LBB4_1107
; %bb.1108:                             ;   in Loop: Header=BB4_1019 Depth=2
	s_or_b64 exec, exec, s[40:41]
	v_accvgpr_read_b32 v22, a28
	v_accvgpr_read_b32 v23, a29
.LBB4_1109:                             ;   in Loop: Header=BB4_1019 Depth=2
	s_or_b64 exec, exec, s[38:39]
	v_and_b32_e32 v4, 12, v17
	v_cndmask_b32_e32 v17, v21, v4, vcc
	v_cmp_ne_u32_e64 s[26:27], 0, v17
	s_mov_b64 s[38:39], 0
	v_mov_b32_e32 v11, 0
                                        ; implicit-def: $vgpr18
                                        ; implicit-def: $vgpr3
	s_and_saveexec_b64 s[40:41], s[26:27]
	s_cbranch_execz .LBB4_1111
; %bb.1110:                             ;   in Loop: Header=BB4_1019 Depth=2
	v_sub_u32_e32 v3, v21, v4
	v_cndmask_b32_e32 v3, 0, v3, vcc
	v_cmp_lt_i32_e32 vcc, 0, v20
	v_add3_u32 v11, v19, v12, v3
	v_cndmask_b32_e32 v3, 0, v36, vcc
	v_sub_u32_e32 v3, v3, v20
	v_lshl_add_u32 v18, v3, 6, v13
	v_ashrrev_i32_e32 v3, 31, v18
	v_lshrrev_b32_e32 v3, 26, v3
	v_add_u32_e32 v3, v18, v3
	s_mov_b64 s[38:39], exec
	v_ashrrev_i32_e32 v3, 6, v3
.LBB4_1111:                             ;   in Loop: Header=BB4_1019 Depth=2
	s_or_b64 exec, exec, s[40:41]
	s_and_b64 s[38:39], s[38:39], exec
.LBB4_1112:                             ;   in Loop: Header=BB4_1019 Depth=2
	s_or_b64 exec, exec, s[36:37]
	s_and_saveexec_b64 s[26:27], s[38:39]
	s_cbranch_execz .LBB4_1122
.LBB4_1113:                             ;   in Loop: Header=BB4_1019 Depth=2
	v_ashrrev_i32_e32 v4, 31, v17
	v_lshrrev_b32_e32 v4, 22, v4
	v_add_u32_e32 v4, v17, v4
	v_ashrrev_i32_e32 v21, 10, v4
	v_sub_u32_e32 v19, v21, v3
	v_ashrrev_i32_e32 v4, 31, v18
	v_cmp_lt_i32_e32 vcc, 0, v19
	v_lshrrev_b32_e32 v20, 26, v4
	s_and_saveexec_b64 s[36:37], vcc
	s_cbranch_execz .LBB4_1117
; %bb.1114:                             ;   in Loop: Header=BB4_1019 Depth=2
	s_trap 2
	ds_read_b64 v[4:5], v0
	v_add_u32_e32 v7, v18, v20
	v_and_b32_e32 v7, 0x3fffffc0, v7
	v_sub_u32_e32 v7, v18, v7
	v_lshlrev_b32_e32 v7, 2, v7
	v_lshlrev_b32_e32 v3, 10, v3
	v_add3_u32 v10, v7, v11, v3
	v_ashrrev_i32_e32 v3, 31, v10
	s_mov_b64 s[38:39], 0
	s_waitcnt lgkmcnt(0)
	v_pk_mov_b32 v[12:13], v[4:5], v[4:5] op_sel:[0,1]
.LBB4_1115:                             ;   Parent Loop BB4_47 Depth=1
                                        ;     Parent Loop BB4_1019 Depth=2
                                        ; =>    This Inner Loop Header: Depth=3
	v_add_co_u32_e32 v22, vcc, v10, v12
	v_addc_co_u32_e32 v23, vcc, v3, v13, vcc
	flat_load_dword v7, v[22:23] glc slc
	flat_load_dword v24, v[22:23] offset:256 glc slc
	flat_load_dword v25, v[22:23] offset:512 glc slc
	;; [unrolled: 1-line block ×3, first 2 shown]
	v_add_co_u32_e32 v22, vcc, v10, v4
	v_addc_co_u32_e32 v23, vcc, v3, v5, vcc
	v_add_co_u32_e32 v12, vcc, v12, v31
	v_addc_co_u32_e32 v13, vcc, v13, v1, vcc
	v_add_co_u32_e32 v4, vcc, v4, v31
	v_sub_u32_e32 v19, v19, v36
	v_addc_co_u32_e32 v5, vcc, v5, v1, vcc
	v_cmp_gt_i32_e32 vcc, 1, v19
	s_or_b64 s[38:39], vcc, s[38:39]
	s_waitcnt vmcnt(0) lgkmcnt(0)
	flat_store_dword v[22:23], v7 glc slc
	flat_store_dword v[22:23], v24 offset:256 glc slc
	flat_store_dword v[22:23], v25 offset:512 glc slc
	;; [unrolled: 1-line block ×3, first 2 shown]
	s_andn2_b64 exec, exec, s[38:39]
	s_cbranch_execnz .LBB4_1115
; %bb.1116:                             ;   in Loop: Header=BB4_1019 Depth=2
	s_or_b64 exec, exec, s[38:39]
	v_accvgpr_read_b32 v22, a28
	v_accvgpr_read_b32 v23, a29
.LBB4_1117:                             ;   in Loop: Header=BB4_1019 Depth=2
	s_or_b64 exec, exec, s[36:37]
	v_lshlrev_b32_e32 v3, 10, v21
	v_cmp_ne_u32_e32 vcc, v17, v3
	s_and_saveexec_b64 s[36:37], vcc
	s_cbranch_execz .LBB4_1121
; %bb.1118:                             ;   in Loop: Header=BB4_1019 Depth=2
	v_add_u32_e32 v4, v18, v20
	v_and_b32_e32 v4, 0xffffffc0, v4
	v_sub_u32_e32 v4, v18, v4
	v_lshlrev_b32_e32 v5, 6, v19
	v_sub_u32_e32 v4, v4, v5
	v_ashrrev_i32_e32 v5, 31, v4
	v_lshrrev_b32_e32 v5, 26, v5
	v_add_u32_e32 v5, v4, v5
	v_and_b32_e32 v7, 0x3fffffc0, v5
	v_sub_u32_e32 v4, v4, v7
	v_lshlrev_b32_e32 v5, 2, v5
	v_and_b32_e32 v5, 0xffffff00, v5
	v_lshlrev_b32_e32 v4, 2, v4
	v_add3_u32 v3, v5, v4, v3
	v_sub_u32_e32 v12, v17, v3
	v_cmp_lt_i32_e32 vcc, 3, v12
	s_and_b64 exec, exec, vcc
	s_cbranch_execz .LBB4_1121
; %bb.1119:                             ;   in Loop: Header=BB4_1019 Depth=2
	s_trap 2
	ds_read_b64 v[4:5], v0
	v_add_u32_e32 v10, v3, v11
	v_ashrrev_i32_e32 v3, 31, v10
	s_mov_b64 s[38:39], 0
.LBB4_1120:                             ;   Parent Loop BB4_47 Depth=1
                                        ;     Parent Loop BB4_1019 Depth=2
                                        ; =>    This Inner Loop Header: Depth=3
	s_waitcnt lgkmcnt(0)
	v_add_co_u32_e32 v18, vcc, v4, v10
	v_addc_co_u32_e32 v19, vcc, v5, v3, vcc
	flat_load_dword v7, v[18:19] glc slc
	v_add_co_u32_e32 v10, vcc, v10, v42
	v_sub_u32_e32 v12, v12, v37
	v_addc_co_u32_e32 v3, vcc, v3, v43, vcc
	v_cmp_gt_i32_e32 vcc, 4, v12
	s_or_b64 s[38:39], vcc, s[38:39]
	s_waitcnt vmcnt(0) lgkmcnt(0)
	flat_store_dword v[18:19], v7 glc slc
	s_andn2_b64 exec, exec, s[38:39]
	s_cbranch_execnz .LBB4_1120
.LBB4_1121:                             ;   in Loop: Header=BB4_1019 Depth=2
	s_or_b64 exec, exec, s[36:37]
.LBB4_1122:                             ;   in Loop: Header=BB4_1019 Depth=2
	s_or_b64 exec, exec, s[26:27]
	v_accvgpr_read_b32 v18, a18
	v_accvgpr_read_b32 v19, a19
	s_and_saveexec_b64 s[26:27], s[10:11]
	s_cbranch_execnz .LBB4_1089
.LBB4_1123:                             ;   in Loop: Header=BB4_1019 Depth=2
	s_or_b64 exec, exec, s[26:27]
	s_and_saveexec_b64 s[26:27], s[24:25]
	s_xor_b64 s[36:37], exec, s[26:27]
	s_cbranch_execz .LBB4_1134
.LBB4_1124:                             ;   in Loop: Header=BB4_1019 Depth=2
	v_and_b32_e32 v3, 16, v62
	v_cmp_lt_i32_e32 vcc, 0, v16
	v_cmp_ne_u32_e64 s[26:27], 0, v3
	s_and_b64 vcc, s[26:27], vcc
	s_and_saveexec_b64 s[26:27], vcc
	s_cbranch_execz .LBB4_1126
; %bb.1125:                             ;   in Loop: Header=BB4_1019 Depth=2
	s_waitcnt vmcnt(0) lgkmcnt(0)
	buffer_wbinvl1_vol
.LBB4_1126:                             ;   in Loop: Header=BB4_1019 Depth=2
	s_or_b64 exec, exec, s[26:27]
	s_andn2_saveexec_b64 s[26:27], s[36:37]
	s_cbranch_execz .LBB4_1153
	s_branch .LBB4_1135
.LBB4_1127:                             ;   in Loop: Header=BB4_1019 Depth=2
	s_or_b64 exec, exec, s[42:43]
	s_and_saveexec_b64 vcc, s[44:45]
	s_xor_b64 vcc, exec, vcc
	s_cbranch_execz .LBB4_1129
; %bb.1128:                             ;   in Loop: Header=BB4_1019 Depth=2
	ds_write_b32 v0, v46
	s_trap 2
.LBB4_1129:                             ;   in Loop: Header=BB4_1019 Depth=2
	s_or_b64 exec, exec, s[40:41]
	;;#ASMSTART
	s_wakeup
	;;#ASMEND
.LBB4_1130:                             ;   in Loop: Header=BB4_1019 Depth=2
	s_or_b64 exec, exec, s[38:39]
.LBB4_1131:                             ;   in Loop: Header=BB4_1019 Depth=2
	s_andn2_saveexec_b64 vcc, s[36:37]
	s_cbranch_execz .LBB4_1133
; %bb.1132:                             ;   in Loop: Header=BB4_1019 Depth=2
	s_waitcnt vmcnt(0) lgkmcnt(0)
	buffer_wbinvl1_vol
	s_barrier
.LBB4_1133:                             ;   in Loop: Header=BB4_1019 Depth=2
	s_or_b64 exec, exec, vcc
	s_or_b64 exec, exec, s[26:27]
	s_and_saveexec_b64 s[26:27], s[24:25]
	s_xor_b64 s[36:37], exec, s[26:27]
	s_cbranch_execnz .LBB4_1124
.LBB4_1134:                             ;   in Loop: Header=BB4_1019 Depth=2
	s_andn2_saveexec_b64 s[26:27], s[36:37]
	s_cbranch_execz .LBB4_1153
.LBB4_1135:                             ;   in Loop: Header=BB4_1019 Depth=2
	s_and_saveexec_b64 vcc, s[52:53]
	s_xor_b64 s[36:37], exec, vcc
	s_cbranch_execz .LBB4_1150
; %bb.1136:                             ;   in Loop: Header=BB4_1019 Depth=2
	s_and_saveexec_b64 s[38:39], s[16:17]
	s_cbranch_execz .LBB4_1149
; %bb.1137:                             ;   in Loop: Header=BB4_1019 Depth=2
	s_mov_b64 s[42:43], exec
	v_mbcnt_lo_u32_b32 v3, s42, 0
	v_mbcnt_hi_u32_b32 v3, s43, v3
	v_cmp_eq_u32_e32 vcc, 0, v3
	;;#ASMSTART
	s_waitcnt lgkmcnt(0) vmcnt(0)
	;;#ASMEND
	s_and_saveexec_b64 s[40:41], vcc
	s_cbranch_execz .LBB4_1139
; %bb.1138:                             ;   in Loop: Header=BB4_1019 Depth=2
	s_bcnt1_i32_b64 vcc_lo, s[42:43]
	v_mov_b32_e32 v4, vcc_lo
	v_mov_b32_e32 v5, v6
	ds_add_u64 v0, v[4:5]
	s_trap 2
.LBB4_1139:                             ;   in Loop: Header=BB4_1019 Depth=2
	s_or_b64 exec, exec, s[40:41]
	s_trap 2
	ds_read_b64 v[4:5], v0
	v_add_co_u32_e32 v48, vcc, v48, v36
	v_addc_co_u32_e32 v49, vcc, 0, v49, vcc
	s_waitcnt lgkmcnt(0)
	v_cmp_lt_u64_e32 vcc, v[4:5], v[48:49]
	s_and_saveexec_b64 s[40:41], vcc
	s_cbranch_execz .LBB4_1148
; %bb.1140:                             ;   in Loop: Header=BB4_1019 Depth=2
	s_mov_b32 s67, 0
	s_mov_b64 s[42:43], 0
                                        ; implicit-def: $sgpr44_sgpr45
                                        ; implicit-def: $sgpr60_sgpr61
	s_branch .LBB4_1142
.LBB4_1141:                             ;   in Loop: Header=BB4_1142 Depth=3
	s_or_b64 exec, exec, s[64:65]
	s_and_b64 vcc, exec, vcc
	s_or_b64 s[42:43], vcc, s[42:43]
	s_andn2_b64 vcc, s[44:45], exec
	s_and_b64 s[44:45], s[60:61], exec
	s_or_b64 s[44:45], vcc, s[44:45]
	s_andn2_b64 exec, exec, s[42:43]
	s_cbranch_execz .LBB4_1146
.LBB4_1142:                             ;   Parent Loop BB4_47 Depth=1
                                        ;     Parent Loop BB4_1019 Depth=2
                                        ; =>    This Inner Loop Header: Depth=3
	s_add_i32 s67, s67, 1
	s_cmpk_lg_i32 s67, 0x2710
	s_cselect_b64 s[62:63], -1, 0
	s_and_b64 vcc, exec, s[62:63]
                                        ; implicit-def: $sgpr64_sgpr65
	s_cbranch_vccnz .LBB4_1144
; %bb.1143:                             ;   in Loop: Header=BB4_1142 Depth=3
	s_trap 2
	ds_read_b64 v[4:5], v0
	s_andn2_b64 s[62:63], s[62:63], exec
	s_mov_b32 s67, 0
	s_mov_b64 s[64:65], -1
	s_waitcnt vmcnt(0) lgkmcnt(0)
	flat_load_dword v3, v[4:5] glc
	s_waitcnt vmcnt(0) lgkmcnt(0)
	buffer_invl2
	buffer_wbinvl1_vol
	v_cmp_eq_u32_e32 vcc, 0, v3
	s_and_b64 vcc, vcc, exec
	s_or_b64 s[62:63], s[62:63], vcc
.LBB4_1144:                             ;   in Loop: Header=BB4_1142 Depth=3
	s_andn2_b64 s[60:61], s[60:61], exec
	s_and_b64 s[64:65], s[64:65], exec
	s_mov_b64 vcc, -1
	s_or_b64 s[60:61], s[60:61], s[64:65]
	s_and_saveexec_b64 s[64:65], s[62:63]
	s_cbranch_execz .LBB4_1141
; %bb.1145:                             ;   in Loop: Header=BB4_1142 Depth=3
	s_sleep 1
	s_trap 2
	ds_read_b64 v[4:5], v0
	s_andn2_b64 s[60:61], s[60:61], exec
	s_waitcnt lgkmcnt(0)
	v_cmp_ge_u64_e32 vcc, v[4:5], v[48:49]
	s_orn2_b64 vcc, vcc, exec
	s_branch .LBB4_1141
.LBB4_1146:                             ;   in Loop: Header=BB4_1019 Depth=2
	s_or_b64 exec, exec, s[42:43]
	s_and_saveexec_b64 vcc, s[44:45]
	s_xor_b64 vcc, exec, vcc
	s_cbranch_execz .LBB4_1148
; %bb.1147:                             ;   in Loop: Header=BB4_1019 Depth=2
	ds_write_b32 v0, v46
	s_trap 2
.LBB4_1148:                             ;   in Loop: Header=BB4_1019 Depth=2
	s_or_b64 exec, exec, s[40:41]
	;;#ASMSTART
	s_wakeup
	;;#ASMEND
.LBB4_1149:                             ;   in Loop: Header=BB4_1019 Depth=2
	s_or_b64 exec, exec, s[38:39]
.LBB4_1150:                             ;   in Loop: Header=BB4_1019 Depth=2
	s_andn2_saveexec_b64 vcc, s[36:37]
	s_cbranch_execz .LBB4_1152
; %bb.1151:                             ;   in Loop: Header=BB4_1019 Depth=2
	;;#ASMSTART
	s_waitcnt lgkmcnt(0) vmcnt(0)
	;;#ASMEND
	s_barrier
.LBB4_1152:                             ;   in Loop: Header=BB4_1019 Depth=2
	s_or_b64 exec, exec, vcc
.LBB4_1153:                             ;   in Loop: Header=BB4_1019 Depth=2
	s_or_b64 exec, exec, s[26:27]
	v_and_b32_e32 v3, 32, v62
	v_cmp_ne_u32_e32 vcc, 0, v3
	s_and_saveexec_b64 s[26:27], vcc
	s_cbranch_execz .LBB4_1018
; %bb.1154:                             ;   in Loop: Header=BB4_1019 Depth=2
	v_add_co_u32_e32 v32, vcc, 2, v32
	v_addc_co_u32_e32 v33, vcc, 0, v33, vcc
	flat_store_dwordx2 v[34:35], v[32:33]
	s_branch .LBB4_1018
.LBB4_1155:                             ;   in Loop: Header=BB4_47 Depth=1
	s_or_b64 exec, exec, s[30:31]
.LBB4_1156:                             ;   in Loop: Header=BB4_47 Depth=1
	s_or_b64 exec, exec, s[28:29]
	v_cmp_gt_i32_e32 vcc, 2, v3
	s_and_saveexec_b64 s[28:29], vcc
	s_cbranch_execz .LBB4_46
; %bb.1157:                             ;   in Loop: Header=BB4_47 Depth=1
	v_cmp_eq_u32_e64 s[26:27], 0, v3
	s_mov_b64 s[30:31], 0
	s_branch .LBB4_1159
.LBB4_1158:                             ;   in Loop: Header=BB4_1159 Depth=2
	s_or_b64 exec, exec, s[26:27]
	v_add_u32_e32 v2, v15, v2
	s_mov_b64 s[26:27], 0
	s_andn2_b64 exec, exec, s[30:31]
	s_cbranch_execz .LBB4_45
.LBB4_1159:                             ;   Parent Loop BB4_47 Depth=1
                                        ; =>  This Loop Header: Depth=2
                                        ;       Child Loop BB4_1165 Depth 3
                                        ;       Child Loop BB4_1189 Depth 3
	;; [unrolled: 1-line block ×3, first 2 shown]
	v_and_b32_e32 v3, 4, v62
	s_mov_b64 s[36:37], -1
	v_cmp_ne_u32_e32 vcc, 0, v3
	s_and_saveexec_b64 s[34:35], vcc
	s_cbranch_execz .LBB4_1171
; %bb.1160:                             ;   in Loop: Header=BB4_1159 Depth=2
	v_add_co_u32_e32 v4, vcc, 2, v32
	v_addc_co_u32_e32 v5, vcc, 0, v33, vcc
	v_cmp_lt_u64_e32 vcc, v[50:51], v[4:5]
	v_mov_b32_e32 v3, 1
	s_and_saveexec_b64 s[36:37], vcc
	s_cbranch_execz .LBB4_1170
; %bb.1161:                             ;   in Loop: Header=BB4_1159 Depth=2
	s_mov_b64 s[38:39], 0
	v_mov_b32_e32 v3, 0
                                        ; implicit-def: $sgpr40_sgpr41
	s_branch .LBB4_1165
.LBB4_1162:                             ;   in Loop: Header=BB4_1165 Depth=3
	s_or_b64 exec, exec, s[62:63]
	v_mov_b32_e32 v8, 0
	s_orn2_b64 s[60:61], s[60:61], exec
.LBB4_1163:                             ;   in Loop: Header=BB4_1165 Depth=3
	s_or_b64 exec, exec, s[44:45]
	s_andn2_b64 vcc, s[40:41], exec
	s_and_b64 s[40:41], s[60:61], exec
	s_or_b64 s[40:41], vcc, s[40:41]
	v_mov_b32_e32 v3, v8
.LBB4_1164:                             ;   in Loop: Header=BB4_1165 Depth=3
	s_or_b64 exec, exec, s[42:43]
	s_waitcnt vmcnt(0) lgkmcnt(0)
	v_cmp_ge_u64_e32 vcc, v[50:51], v[4:5]
	s_xor_b64 s[42:43], s[40:41], -1
	s_or_b64 vcc, s[42:43], vcc
	s_and_b64 vcc, exec, vcc
	s_or_b64 s[38:39], vcc, s[38:39]
	s_andn2_b64 exec, exec, s[38:39]
	s_cbranch_execz .LBB4_1169
.LBB4_1165:                             ;   Parent Loop BB4_47 Depth=1
                                        ;     Parent Loop BB4_1159 Depth=2
                                        ; =>    This Inner Loop Header: Depth=3
	s_sleep 1
	flat_load_dwordx2 v[50:51], v[34:35] glc
	v_and_b32_e32 v7, 64, v62
	v_cmp_eq_u32_e32 vcc, 0, v7
	s_andn2_b64 s[40:41], s[40:41], exec
	s_and_saveexec_b64 s[42:43], vcc
	s_cbranch_execz .LBB4_1164
; %bb.1166:                             ;   in Loop: Header=BB4_1165 Depth=3
	v_add_u32_e32 v8, 1, v3
	v_cmp_lt_i32_e32 vcc, s83, v3
	s_mov_b64 s[60:61], -1
	s_and_saveexec_b64 s[44:45], vcc
	s_cbranch_execz .LBB4_1163
; %bb.1167:                             ;   in Loop: Header=BB4_1165 Depth=3
	s_trap 2
	ds_read_b64 v[8:9], v0
	s_waitcnt vmcnt(0) lgkmcnt(0)
	flat_load_dword v3, v[8:9] glc
	s_waitcnt vmcnt(0) lgkmcnt(0)
	buffer_invl2
	buffer_wbinvl1_vol
	v_cmp_ne_u32_e32 vcc, 0, v3
	s_and_saveexec_b64 s[62:63], vcc
	s_cbranch_execz .LBB4_1162
; %bb.1168:                             ;   in Loop: Header=BB4_1165 Depth=3
	v_or_b32_e32 v62, 64, v62
	s_xor_b64 s[60:61], exec, -1
	ds_write_b32 v0, v3
	s_trap 2
	s_branch .LBB4_1162
.LBB4_1169:                             ;   in Loop: Header=BB4_1159 Depth=2
	s_or_b64 exec, exec, s[38:39]
	v_and_b32_e32 v3, 4, v62
.LBB4_1170:                             ;   in Loop: Header=BB4_1159 Depth=2
	s_or_b64 exec, exec, s[36:37]
	v_cmp_eq_u32_e32 vcc, 0, v3
	s_orn2_b64 s[36:37], vcc, exec
	;;#ASMSTART
	s_wakeup
	;;#ASMEND
.LBB4_1171:                             ;   in Loop: Header=BB4_1159 Depth=2
	s_or_b64 exec, exec, s[34:35]
	s_xor_b64 s[26:27], s[26:27], -1
	s_and_b64 s[26:27], exec, s[26:27]
	s_or_b64 s[30:31], s[26:27], s[30:31]
	s_xor_b64 s[26:27], s[36:37], -1
	s_and_saveexec_b64 s[34:35], s[26:27]
	s_cbranch_execz .LBB4_1181
; %bb.1172:                             ;   in Loop: Header=BB4_1159 Depth=2
	v_and_b32_e32 v3, 0x100, v62
	v_cmp_ne_u32_e32 vcc, 0, v3
	v_and_b32_e32 v3, 7, v32
	s_mov_b64 s[26:27], -1
                                        ; implicit-def: $vgpr4_vgpr5
	s_and_saveexec_b64 s[36:37], vcc
	s_cbranch_execz .LBB4_1176
; %bb.1173:                             ;   in Loop: Header=BB4_1159 Depth=2
	v_mad_u64_u32 v[8:9], s[26:27], v3, 24, v[44:45]
	flat_load_dword v4, v[8:9]
	s_waitcnt vmcnt(0) lgkmcnt(0)
	v_cmp_ne_u32_e32 vcc, 1, v4
	v_cmp_eq_u32_e64 s[26:27], 1, v4
                                        ; implicit-def: $vgpr4_vgpr5
	s_and_saveexec_b64 s[38:39], s[26:27]
	s_cbranch_execz .LBB4_1175
; %bb.1174:                             ;   in Loop: Header=BB4_1159 Depth=2
	flat_load_dword v4, v[8:9] offset:4 glc
	s_waitcnt vmcnt(0) lgkmcnt(0)
	v_ashrrev_i32_e32 v5, 31, v4
	v_lshrrev_b64 v[4:5], 2, v[4:5]
.LBB4_1175:                             ;   in Loop: Header=BB4_1159 Depth=2
	s_or_b64 exec, exec, s[38:39]
	s_orn2_b64 s[26:27], vcc, exec
.LBB4_1176:                             ;   in Loop: Header=BB4_1159 Depth=2
	s_or_b64 exec, exec, s[36:37]
	s_and_saveexec_b64 vcc, s[26:27]
; %bb.1177:                             ;   in Loop: Header=BB4_1159 Depth=2
	v_mad_i64_i32 v[4:5], s[26:27], v3, v30, 0
; %bb.1178:                             ;   in Loop: Header=BB4_1159 Depth=2
	s_or_b64 exec, exec, vcc
	v_lshlrev_b64 v[4:5], 2, v[4:5]
	v_add_co_u32_e32 v4, vcc, v40, v4
	v_addc_co_u32_e32 v5, vcc, v41, v5, vcc
	v_and_b32_e32 v3, 0x2000, v62
	v_cmp_ne_u32_e32 vcc, 0, v3
	ds_write_b64 v0, v[4:5] offset:720
	s_and_saveexec_b64 s[26:27], vcc
	s_cbranch_execz .LBB4_1180
; %bb.1179:                             ;   in Loop: Header=BB4_1159 Depth=2
	ds_read_b64 v[4:5], v0 offset:584
	s_waitcnt lgkmcnt(0)
	v_add_co_u32_e32 v4, vcc, 1, v4
	v_addc_co_u32_e32 v5, vcc, 0, v5, vcc
	ds_write_b64 v0, v[4:5] offset:584
.LBB4_1180:                             ;   in Loop: Header=BB4_1159 Depth=2
	s_or_b64 exec, exec, s[26:27]
	v_add_co_u32_e32 v32, vcc, 2, v32
	v_addc_co_u32_e32 v33, vcc, 0, v33, vcc
.LBB4_1181:                             ;   in Loop: Header=BB4_1159 Depth=2
	s_or_b64 exec, exec, s[34:35]
	s_and_saveexec_b64 s[26:27], s[10:11]
	s_cbranch_execz .LBB4_1200
; %bb.1182:                             ;   in Loop: Header=BB4_1159 Depth=2
	s_and_saveexec_b64 vcc, s[52:53]
	s_xor_b64 s[34:35], exec, vcc
	s_cbranch_execz .LBB4_1197
; %bb.1183:                             ;   in Loop: Header=BB4_1159 Depth=2
	s_and_saveexec_b64 s[36:37], s[16:17]
	s_cbranch_execz .LBB4_1196
; %bb.1184:                             ;   in Loop: Header=BB4_1159 Depth=2
	s_mov_b64 s[40:41], exec
	v_mbcnt_lo_u32_b32 v3, s40, 0
	v_mbcnt_hi_u32_b32 v3, s41, v3
	v_cmp_eq_u32_e32 vcc, 0, v3
	s_waitcnt vmcnt(0) lgkmcnt(0)
	buffer_wbinvl1_vol
	s_and_saveexec_b64 s[38:39], vcc
	s_cbranch_execz .LBB4_1186
; %bb.1185:                             ;   in Loop: Header=BB4_1159 Depth=2
	s_bcnt1_i32_b64 vcc_lo, s[40:41]
	v_mov_b32_e32 v4, vcc_lo
	v_mov_b32_e32 v5, v6
	ds_add_u64 v0, v[4:5]
	s_trap 2
.LBB4_1186:                             ;   in Loop: Header=BB4_1159 Depth=2
	s_or_b64 exec, exec, s[38:39]
	s_trap 2
	ds_read_b64 v[4:5], v0
	v_add_co_u32_e32 v48, vcc, v48, v36
	v_addc_co_u32_e32 v49, vcc, 0, v49, vcc
	s_waitcnt lgkmcnt(0)
	v_cmp_lt_u64_e32 vcc, v[4:5], v[48:49]
	s_and_saveexec_b64 s[38:39], vcc
	s_cbranch_execz .LBB4_1195
; %bb.1187:                             ;   in Loop: Header=BB4_1159 Depth=2
	s_mov_b32 s64, 0
	s_mov_b64 s[40:41], 0
                                        ; implicit-def: $sgpr42_sgpr43
                                        ; implicit-def: $sgpr44_sgpr45
	s_branch .LBB4_1189
.LBB4_1188:                             ;   in Loop: Header=BB4_1189 Depth=3
	s_or_b64 exec, exec, s[62:63]
	s_and_b64 vcc, exec, vcc
	s_or_b64 s[40:41], vcc, s[40:41]
	s_andn2_b64 vcc, s[42:43], exec
	s_and_b64 s[42:43], s[44:45], exec
	s_or_b64 s[42:43], vcc, s[42:43]
	s_andn2_b64 exec, exec, s[40:41]
	s_cbranch_execz .LBB4_1193
.LBB4_1189:                             ;   Parent Loop BB4_47 Depth=1
                                        ;     Parent Loop BB4_1159 Depth=2
                                        ; =>    This Inner Loop Header: Depth=3
	s_add_i32 s64, s64, 1
	s_cmpk_lg_i32 s64, 0x2710
	s_cselect_b64 s[60:61], -1, 0
	s_and_b64 vcc, exec, s[60:61]
                                        ; implicit-def: $sgpr62_sgpr63
	s_cbranch_vccnz .LBB4_1191
; %bb.1190:                             ;   in Loop: Header=BB4_1189 Depth=3
	s_trap 2
	ds_read_b64 v[4:5], v0
	s_andn2_b64 s[60:61], s[60:61], exec
	s_mov_b32 s64, 0
	s_mov_b64 s[62:63], -1
	s_waitcnt lgkmcnt(0)
	flat_load_dword v3, v[4:5] glc
	s_waitcnt vmcnt(0) lgkmcnt(0)
	buffer_invl2
	buffer_wbinvl1_vol
	v_cmp_eq_u32_e32 vcc, 0, v3
	s_and_b64 vcc, vcc, exec
	s_or_b64 s[60:61], s[60:61], vcc
.LBB4_1191:                             ;   in Loop: Header=BB4_1189 Depth=3
	s_andn2_b64 s[44:45], s[44:45], exec
	s_and_b64 s[62:63], s[62:63], exec
	s_mov_b64 vcc, -1
	s_or_b64 s[44:45], s[44:45], s[62:63]
	s_and_saveexec_b64 s[62:63], s[60:61]
	s_cbranch_execz .LBB4_1188
; %bb.1192:                             ;   in Loop: Header=BB4_1189 Depth=3
	s_sleep 1
	s_trap 2
	ds_read_b64 v[4:5], v0
	s_andn2_b64 s[44:45], s[44:45], exec
	s_waitcnt lgkmcnt(0)
	v_cmp_ge_u64_e32 vcc, v[4:5], v[48:49]
	s_orn2_b64 vcc, vcc, exec
	s_branch .LBB4_1188
.LBB4_1193:                             ;   in Loop: Header=BB4_1159 Depth=2
	s_or_b64 exec, exec, s[40:41]
	s_and_saveexec_b64 vcc, s[42:43]
	s_xor_b64 vcc, exec, vcc
	s_cbranch_execz .LBB4_1195
; %bb.1194:                             ;   in Loop: Header=BB4_1159 Depth=2
	ds_write_b32 v0, v46
	s_trap 2
.LBB4_1195:                             ;   in Loop: Header=BB4_1159 Depth=2
	s_or_b64 exec, exec, s[38:39]
	;;#ASMSTART
	s_wakeup
	;;#ASMEND
.LBB4_1196:                             ;   in Loop: Header=BB4_1159 Depth=2
	s_or_b64 exec, exec, s[36:37]
.LBB4_1197:                             ;   in Loop: Header=BB4_1159 Depth=2
	s_andn2_saveexec_b64 vcc, s[34:35]
	s_cbranch_execz .LBB4_1199
; %bb.1198:                             ;   in Loop: Header=BB4_1159 Depth=2
	s_waitcnt vmcnt(0) lgkmcnt(0)
	buffer_wbinvl1_vol
	s_barrier
.LBB4_1199:                             ;   in Loop: Header=BB4_1159 Depth=2
	s_or_b64 exec, exec, vcc
.LBB4_1200:                             ;   in Loop: Header=BB4_1159 Depth=2
	s_or_b64 exec, exec, s[26:27]
	v_sub_u32_e32 v3, v14, v2
	v_min_i32_e32 v15, v15, v3
	s_and_saveexec_b64 s[26:27], s[24:25]
	s_xor_b64 s[26:27], exec, s[26:27]
	s_cbranch_execz .LBB4_1204
; %bb.1201:                             ;   in Loop: Header=BB4_1159 Depth=2
	s_trap 2
	ds_read_b32 v3, v0
	v_cmp_lt_i32_e32 vcc, 0, v15
	v_and_b32_e32 v4, 16, v62
	s_waitcnt lgkmcnt(0)
	v_readfirstlane_b32 s34, v3
	s_cmp_eq_u32 s34, 0
	s_cselect_b64 s[34:35], -1, 0
	s_and_b64 s[34:35], vcc, s[34:35]
	v_cmp_ne_u32_e32 vcc, 0, v4
	s_and_b64 s[34:35], vcc, s[34:35]
	s_and_saveexec_b64 vcc, s[34:35]
	s_cbranch_execz .LBB4_1203
; %bb.1202:                             ;   in Loop: Header=BB4_1159 Depth=2
	s_waitcnt vmcnt(0)
	buffer_wbinvl1_vol
.LBB4_1203:                             ;   in Loop: Header=BB4_1159 Depth=2
	s_or_b64 exec, exec, vcc
.LBB4_1204:                             ;   in Loop: Header=BB4_1159 Depth=2
	s_andn2_saveexec_b64 s[26:27], s[26:27]
	s_cbranch_execz .LBB4_1223
; %bb.1205:                             ;   in Loop: Header=BB4_1159 Depth=2
	s_and_saveexec_b64 vcc, s[52:53]
	s_xor_b64 s[34:35], exec, vcc
	s_cbranch_execz .LBB4_1220
; %bb.1206:                             ;   in Loop: Header=BB4_1159 Depth=2
	s_and_saveexec_b64 s[36:37], s[16:17]
	s_cbranch_execz .LBB4_1219
; %bb.1207:                             ;   in Loop: Header=BB4_1159 Depth=2
	s_mov_b64 s[40:41], exec
	v_mbcnt_lo_u32_b32 v3, s40, 0
	v_mbcnt_hi_u32_b32 v3, s41, v3
	v_cmp_eq_u32_e32 vcc, 0, v3
	;;#ASMSTART
	s_waitcnt lgkmcnt(0) vmcnt(0)
	;;#ASMEND
	s_and_saveexec_b64 s[38:39], vcc
	s_cbranch_execz .LBB4_1209
; %bb.1208:                             ;   in Loop: Header=BB4_1159 Depth=2
	s_bcnt1_i32_b64 vcc_lo, s[40:41]
	v_mov_b32_e32 v4, vcc_lo
	v_mov_b32_e32 v5, v6
	ds_add_u64 v0, v[4:5]
	s_trap 2
.LBB4_1209:                             ;   in Loop: Header=BB4_1159 Depth=2
	s_or_b64 exec, exec, s[38:39]
	s_trap 2
	ds_read_b64 v[4:5], v0
	v_add_co_u32_e32 v48, vcc, v48, v36
	v_addc_co_u32_e32 v49, vcc, 0, v49, vcc
	s_waitcnt lgkmcnt(0)
	v_cmp_lt_u64_e32 vcc, v[4:5], v[48:49]
	s_and_saveexec_b64 s[38:39], vcc
	s_cbranch_execz .LBB4_1218
; %bb.1210:                             ;   in Loop: Header=BB4_1159 Depth=2
	s_mov_b32 s64, 0
	s_mov_b64 s[40:41], 0
                                        ; implicit-def: $sgpr42_sgpr43
                                        ; implicit-def: $sgpr44_sgpr45
	s_branch .LBB4_1212
.LBB4_1211:                             ;   in Loop: Header=BB4_1212 Depth=3
	s_or_b64 exec, exec, s[62:63]
	s_and_b64 vcc, exec, vcc
	s_or_b64 s[40:41], vcc, s[40:41]
	s_andn2_b64 vcc, s[42:43], exec
	s_and_b64 s[42:43], s[44:45], exec
	s_or_b64 s[42:43], vcc, s[42:43]
	s_andn2_b64 exec, exec, s[40:41]
	s_cbranch_execz .LBB4_1216
.LBB4_1212:                             ;   Parent Loop BB4_47 Depth=1
                                        ;     Parent Loop BB4_1159 Depth=2
                                        ; =>    This Inner Loop Header: Depth=3
	s_add_i32 s64, s64, 1
	s_cmpk_lg_i32 s64, 0x2710
	s_cselect_b64 s[60:61], -1, 0
	s_and_b64 vcc, exec, s[60:61]
                                        ; implicit-def: $sgpr62_sgpr63
	s_cbranch_vccnz .LBB4_1214
; %bb.1213:                             ;   in Loop: Header=BB4_1212 Depth=3
	s_trap 2
	ds_read_b64 v[4:5], v0
	s_andn2_b64 s[60:61], s[60:61], exec
	s_mov_b32 s64, 0
	s_mov_b64 s[62:63], -1
	s_waitcnt vmcnt(0) lgkmcnt(0)
	flat_load_dword v3, v[4:5] glc
	s_waitcnt vmcnt(0) lgkmcnt(0)
	buffer_invl2
	buffer_wbinvl1_vol
	v_cmp_eq_u32_e32 vcc, 0, v3
	s_and_b64 vcc, vcc, exec
	s_or_b64 s[60:61], s[60:61], vcc
.LBB4_1214:                             ;   in Loop: Header=BB4_1212 Depth=3
	s_andn2_b64 s[44:45], s[44:45], exec
	s_and_b64 s[62:63], s[62:63], exec
	s_mov_b64 vcc, -1
	s_or_b64 s[44:45], s[44:45], s[62:63]
	s_and_saveexec_b64 s[62:63], s[60:61]
	s_cbranch_execz .LBB4_1211
; %bb.1215:                             ;   in Loop: Header=BB4_1212 Depth=3
	s_sleep 1
	s_trap 2
	ds_read_b64 v[4:5], v0
	s_andn2_b64 s[44:45], s[44:45], exec
	s_waitcnt lgkmcnt(0)
	v_cmp_ge_u64_e32 vcc, v[4:5], v[48:49]
	s_orn2_b64 vcc, vcc, exec
	s_branch .LBB4_1211
.LBB4_1216:                             ;   in Loop: Header=BB4_1159 Depth=2
	s_or_b64 exec, exec, s[40:41]
	s_and_saveexec_b64 vcc, s[42:43]
	s_xor_b64 vcc, exec, vcc
	s_cbranch_execz .LBB4_1218
; %bb.1217:                             ;   in Loop: Header=BB4_1159 Depth=2
	ds_write_b32 v0, v46
	s_trap 2
.LBB4_1218:                             ;   in Loop: Header=BB4_1159 Depth=2
	s_or_b64 exec, exec, s[38:39]
	;;#ASMSTART
	s_wakeup
	;;#ASMEND
.LBB4_1219:                             ;   in Loop: Header=BB4_1159 Depth=2
	s_or_b64 exec, exec, s[36:37]
.LBB4_1220:                             ;   in Loop: Header=BB4_1159 Depth=2
	s_andn2_saveexec_b64 vcc, s[34:35]
	s_cbranch_execz .LBB4_1222
; %bb.1221:                             ;   in Loop: Header=BB4_1159 Depth=2
	;;#ASMSTART
	s_waitcnt lgkmcnt(0) vmcnt(0)
	;;#ASMEND
	s_barrier
.LBB4_1222:                             ;   in Loop: Header=BB4_1159 Depth=2
	s_or_b64 exec, exec, vcc
.LBB4_1223:                             ;   in Loop: Header=BB4_1159 Depth=2
	s_or_b64 exec, exec, s[26:27]
	v_and_b32_e32 v3, 32, v62
	v_cmp_ne_u32_e32 vcc, 0, v3
	s_and_saveexec_b64 s[26:27], vcc
	s_cbranch_execz .LBB4_1158
; %bb.1224:                             ;   in Loop: Header=BB4_1159 Depth=2
	v_add_co_u32_e32 v32, vcc, 2, v32
	v_addc_co_u32_e32 v33, vcc, 0, v33, vcc
	flat_store_dwordx2 v[34:35], v[32:33]
	s_branch .LBB4_1158
.LBB4_1225:
	s_or_b64 exec, exec, s[50:51]
	v_accvgpr_read_b32 v21, a11
	v_accvgpr_read_b32 v18, a0
	;; [unrolled: 1-line block ×5, first 2 shown]
.LBB4_1226:
	s_or_b64 exec, exec, s[48:49]
	v_and_b32_e32 v0, 0x800, v62
	v_cmp_eq_u32_e32 vcc, 0, v0
	s_and_saveexec_b64 s[4:5], vcc
	s_cbranch_execz .LBB4_1261
; %bb.1227:
	v_and_b32_e32 v0, 48, v62
	v_cmp_ne_u32_e32 vcc, 0, v0
	s_and_saveexec_b64 s[6:7], vcc
	s_cbranch_execz .LBB4_1229
; %bb.1228:
	flat_store_dwordx2 v[20:21], v[32:33] offset:104
.LBB4_1229:
	s_or_b64 exec, exec, s[6:7]
	s_movk_i32 s6, 0x88
	v_and_b32_e32 v0, 0x88, v62
	v_cmp_eq_u32_e32 vcc, s6, v0
	s_and_saveexec_b64 s[6:7], vcc
	s_cbranch_execz .LBB4_1241
; %bb.1230:
	v_add_u32_e32 v0, 6, v32
	v_and_b32_e32 v0, 7, v0
	v_mad_u64_u32 v[0:1], s[10:11], v0, 24, v[44:45]
	v_add_co_u32_e32 v2, vcc, 8, v0
	v_addc_co_u32_e32 v3, vcc, 0, v1, vcc
	s_mov_b64 s[10:11], 0
	v_mov_b32_e32 v0, 0
	s_movk_i32 s24, 0x270e
                                        ; implicit-def: $sgpr12_sgpr13
	s_branch .LBB4_1235
.LBB4_1231:                             ;   in Loop: Header=BB4_1235 Depth=1
	s_or_b64 exec, exec, s[22:23]
	v_mov_b32_e32 v1, 0
	s_orn2_b64 s[20:21], s[20:21], exec
.LBB4_1232:                             ;   in Loop: Header=BB4_1235 Depth=1
	s_or_b64 exec, exec, s[18:19]
	s_and_b64 s[18:19], s[20:21], exec
	v_mov_b32_e32 v0, v1
.LBB4_1233:                             ;   in Loop: Header=BB4_1235 Depth=1
	s_or_b64 exec, exec, s[16:17]
	s_xor_b64 s[16:17], s[18:19], -1
	s_andn2_b64 s[12:13], s[12:13], exec
	s_and_b64 s[16:17], s[16:17], exec
	s_or_b64 s[12:13], s[12:13], s[16:17]
.LBB4_1234:                             ;   in Loop: Header=BB4_1235 Depth=1
	s_or_b64 exec, exec, s[14:15]
	s_and_b64 s[14:15], exec, s[12:13]
	s_or_b64 s[10:11], s[14:15], s[10:11]
	s_andn2_b64 exec, exec, s[10:11]
	s_cbranch_execz .LBB4_1240
.LBB4_1235:                             ; =>This Inner Loop Header: Depth=1
	s_waitcnt lgkmcnt(0)
	flat_load_dwordx2 v[4:5], v[2:3] glc
	s_waitcnt vmcnt(0)
	s_or_b64 s[12:13], s[12:13], exec
	s_waitcnt lgkmcnt(0)
	v_cmp_ne_u64_e32 vcc, -1, v[4:5]
	s_and_saveexec_b64 s[14:15], vcc
	s_cbranch_execz .LBB4_1234
; %bb.1236:                             ;   in Loop: Header=BB4_1235 Depth=1
	v_and_b32_e32 v1, 64, v62
	v_cmp_eq_u32_e32 vcc, 0, v1
	s_mov_b64 s[18:19], 0
	s_and_saveexec_b64 s[16:17], vcc
	s_cbranch_execz .LBB4_1233
; %bb.1237:                             ;   in Loop: Header=BB4_1235 Depth=1
	v_add_u32_e32 v1, 1, v0
	v_cmp_lt_i32_e32 vcc, s24, v0
	s_mov_b64 s[20:21], -1
	s_and_saveexec_b64 s[18:19], vcc
	s_cbranch_execz .LBB4_1232
; %bb.1238:                             ;   in Loop: Header=BB4_1235 Depth=1
	s_trap 2
	ds_read_b64 v[0:1], v0
	s_waitcnt lgkmcnt(0)
	flat_load_dword v0, v[0:1] glc
	s_waitcnt vmcnt(0) lgkmcnt(0)
	buffer_invl2
	buffer_wbinvl1_vol
	v_cmp_ne_u32_e32 vcc, 0, v0
	s_and_saveexec_b64 s[22:23], vcc
	s_cbranch_execz .LBB4_1231
; %bb.1239:                             ;   in Loop: Header=BB4_1235 Depth=1
	v_or_b32_e32 v62, 64, v62
	s_xor_b64 s[20:21], exec, -1
	ds_write_b32 v0, v0
	s_trap 2
	s_branch .LBB4_1231
.LBB4_1240:
	s_or_b64 exec, exec, s[10:11]
.LBB4_1241:
	s_or_b64 exec, exec, s[6:7]
	v_and_b32_e32 v0, 0x2000, v62
	v_cmp_ne_u32_e32 vcc, 0, v0
	s_and_saveexec_b64 s[6:7], vcc
	s_cbranch_execz .LBB4_1243
; %bb.1242:
	s_trap 2
	ds_read_b64 v[0:1], v0
	v_accvgpr_read_b32 v2, a8
	v_accvgpr_read_b32 v3, a9
	s_waitcnt lgkmcnt(0)
	flat_store_dwordx2 v[2:3], v[0:1] offset:16
.LBB4_1243:
	s_or_b64 exec, exec, s[6:7]
	v_cmp_ne_u32_e32 vcc, 64, v18
	s_and_b64 exec, exec, vcc
	s_cbranch_execz .LBB4_1261
; %bb.1244:
	v_cmp_ne_u32_sdwa s[6:7], v19, v18 src0_sel:WORD_0 src1_sel:DWORD
	s_and_saveexec_b64 s[10:11], s[6:7]
	s_xor_b64 s[6:7], exec, s[10:11]
	s_cbranch_execz .LBB4_1259
; %bb.1245:
	v_and_b32_e32 v0, 63, v31
	v_cmp_eq_u32_e32 vcc, 0, v0
	s_and_saveexec_b64 s[10:11], vcc
	s_cbranch_execz .LBB4_1258
; %bb.1246:
	s_mov_b64 s[14:15], exec
	v_mbcnt_lo_u32_b32 v0, s14, 0
	v_mbcnt_hi_u32_b32 v0, s15, v0
	v_cmp_eq_u32_e32 vcc, 0, v0
	s_waitcnt vmcnt(0) lgkmcnt(0)
	buffer_wbinvl1_vol
	s_and_saveexec_b64 s[12:13], vcc
	s_cbranch_execz .LBB4_1248
; %bb.1247:
	s_bcnt1_i32_b64 s14, s[14:15]
	v_mov_b32_e32 v0, s14
	v_mov_b32_e32 v1, 0
	ds_add_u64 v0, v[0:1]
	s_trap 2
.LBB4_1248:
	s_or_b64 exec, exec, s[12:13]
	v_ashrrev_i32_e32 v0, 31, v18
	v_lshrrev_b32_e32 v0, 26, v0
	v_add_u32_e32 v0, v18, v0
	v_ashrrev_i32_e32 v0, 6, v0
	s_trap 2
	ds_read_b64 v[2:3], v0
	v_ashrrev_i32_e32 v1, 31, v0
	v_add_co_u32_e32 v0, vcc, v48, v0
	v_addc_co_u32_e32 v1, vcc, v49, v1, vcc
	s_waitcnt lgkmcnt(0)
	v_cmp_lt_u64_e32 vcc, v[2:3], v[0:1]
	s_and_saveexec_b64 s[12:13], vcc
	s_cbranch_execz .LBB4_1257
; %bb.1249:
	s_mov_b32 s26, 0
	s_mov_b64 s[14:15], 0
                                        ; implicit-def: $sgpr16_sgpr17
                                        ; implicit-def: $sgpr18_sgpr19
	s_branch .LBB4_1251
.LBB4_1250:                             ;   in Loop: Header=BB4_1251 Depth=1
	s_or_b64 exec, exec, s[24:25]
	s_and_b64 s[20:21], exec, s[22:23]
	s_or_b64 s[14:15], s[20:21], s[14:15]
	s_andn2_b64 s[16:17], s[16:17], exec
	s_and_b64 s[20:21], s[18:19], exec
	s_or_b64 s[16:17], s[16:17], s[20:21]
	s_andn2_b64 exec, exec, s[14:15]
	s_cbranch_execz .LBB4_1255
.LBB4_1251:                             ; =>This Inner Loop Header: Depth=1
	s_add_i32 s26, s26, 1
	s_cmpk_lg_i32 s26, 0x2710
	s_cselect_b64 s[20:21], -1, 0
	s_and_b64 vcc, exec, s[20:21]
                                        ; implicit-def: $sgpr24_sgpr25
	s_cbranch_vccnz .LBB4_1253
; %bb.1252:                             ;   in Loop: Header=BB4_1251 Depth=1
	s_trap 2
	ds_read_b64 v[2:3], v0
	s_andn2_b64 s[20:21], s[20:21], exec
	s_mov_b32 s26, 0
	s_mov_b64 s[24:25], -1
	s_waitcnt lgkmcnt(0)
	flat_load_dword v2, v[2:3] glc
	s_waitcnt vmcnt(0) lgkmcnt(0)
	buffer_invl2
	buffer_wbinvl1_vol
	v_cmp_eq_u32_e32 vcc, 0, v2
	s_and_b64 s[22:23], vcc, exec
	s_or_b64 s[20:21], s[20:21], s[22:23]
.LBB4_1253:                             ;   in Loop: Header=BB4_1251 Depth=1
	s_andn2_b64 s[18:19], s[18:19], exec
	s_and_b64 s[24:25], s[24:25], exec
	s_mov_b64 s[22:23], -1
	s_or_b64 s[18:19], s[18:19], s[24:25]
	s_and_saveexec_b64 s[24:25], s[20:21]
	s_cbranch_execz .LBB4_1250
; %bb.1254:                             ;   in Loop: Header=BB4_1251 Depth=1
	s_sleep 1
	s_trap 2
	ds_read_b64 v[2:3], v0
	s_andn2_b64 s[18:19], s[18:19], exec
	s_waitcnt lgkmcnt(0)
	v_cmp_ge_u64_e32 vcc, v[2:3], v[0:1]
	s_orn2_b64 s[22:23], vcc, exec
	s_branch .LBB4_1250
.LBB4_1255:
	s_or_b64 exec, exec, s[14:15]
	s_and_saveexec_b64 s[14:15], s[16:17]
	s_xor_b64 s[14:15], exec, s[14:15]
	s_cbranch_execz .LBB4_1257
; %bb.1256:
	v_mov_b32_e32 v0, 1
	ds_write_b32 v0, v0
	s_trap 2
.LBB4_1257:
	s_or_b64 exec, exec, s[12:13]
	;;#ASMSTART
	s_wakeup
	;;#ASMEND
.LBB4_1258:
	s_or_b64 exec, exec, s[10:11]
.LBB4_1259:
	s_andn2_saveexec_b64 s[6:7], s[6:7]
	s_cbranch_execz .LBB4_1261
; %bb.1260:
	s_waitcnt vmcnt(0) lgkmcnt(0)
	buffer_wbinvl1_vol
	s_barrier
.LBB4_1261:
	s_or_b64 exec, exec, s[4:5]
.LBB4_1262:
	s_andn2_saveexec_b64 s[26:27], s[46:47]
	s_cbranch_execz .LBB4_1264
; %bb.1263:
	s_getpc_b64 s[4:5]
	s_add_u32 s4, s4, __PRETTY_FUNCTION__._ZN10PrimitivesIj14FuncSumPostDivIjE12FanSymmetricILi1EELi0E11ProtoSimpleILi2ELi2ELi0ELi2ELi0ELi0EELi0ELb0ELi0ELi0ELi0EEC2EiiPKiS8_PKvPvmhhhP15ncclDevWorkCollP14ncclDevWorkP2pii@rel32@lo+4
	s_addc_u32 s5, s5, __PRETTY_FUNCTION__._ZN10PrimitivesIj14FuncSumPostDivIjE12FanSymmetricILi1EELi0E11ProtoSimpleILi2ELi2ELi0ELi2ELi0ELi0EELi0ELb0ELi0ELi0ELi0EEC2EiiPKiS8_PKvPvmhhhP15ncclDevWorkCollP14ncclDevWorkP2pii@rel32@hi+12
	v_mov_b32_e32 v0, s4
	v_mov_b32_e32 v1, s5
	s_getpc_b64 s[6:7]
	s_add_u32 s6, s6, __assert_fail@rel32@lo+4
	s_addc_u32 s7, s7, __assert_fail@rel32@hi+12
	s_swappc_b64 s[30:31], s[6:7]
	; divergent unreachable
.LBB4_1264:
	s_or_b64 exec, exec, s[26:27]
	buffer_load_dword a39, off, s[0:3], s33 ; 4-byte Folded Reload
	buffer_load_dword a38, off, s[0:3], s33 offset:4 ; 4-byte Folded Reload
	buffer_load_dword a37, off, s[0:3], s33 offset:8 ; 4-byte Folded Reload
	;; [unrolled: 1-line block ×20, first 2 shown]
	s_waitcnt lgkmcnt(0)
	buffer_load_dword v41, off, s[0:3], s33 offset:84 ; 4-byte Folded Reload
	buffer_load_dword v40, off, s[0:3], s33 offset:88 ; 4-byte Folded Reload
	v_readlane_b32 s30, v63, 54
	v_readlane_b32 s31, v63, 55
	;; [unrolled: 1-line block ×57, first 2 shown]
	s_or_saveexec_b64 s[6:7], -1
	buffer_load_dword v63, off, s[0:3], s33 offset:92 ; 4-byte Folded Reload
	s_mov_b64 exec, s[6:7]
	s_addk_i32 s32, 0xe400
	s_mov_b32 s33, s4
	s_waitcnt vmcnt(0)
	s_setpc_b64 s[30:31]
.Lfunc_end4:
	.size	_ZN12_GLOBAL__N_17runRingIj14FuncSumPostDivIjE11ProtoSimpleILi2ELi2ELi0ELi2ELi0ELi0EELi0ELi0ELi2ELi0EEEviiP15ncclDevWorkColl, .Lfunc_end4-_ZN12_GLOBAL__N_17runRingIj14FuncSumPostDivIjE11ProtoSimpleILi2ELi2ELi0ELi2ELi0ELi0EELi0ELi0ELi2ELi0EEEviiP15ncclDevWorkColl
                                        ; -- End function
	.section	.AMDGPU.csdata,"",@progbits
; Function info:
; codeLenInByte = 40836
; NumSgprs: 92
; NumVgprs: 64
; NumAgprs: 40
; TotalNumVgprs: 104
; ScratchSize: 176
; MemoryBound: 1
	.text
	.p2align	2                               ; -- Begin function _Z54ncclDevFunc_AllReduce_RING_SIMPLE_SumPostDiv_u32_0_0_2v
	.type	_Z54ncclDevFunc_AllReduce_RING_SIMPLE_SumPostDiv_u32_0_0_2v,@function
_Z54ncclDevFunc_AllReduce_RING_SIMPLE_SumPostDiv_u32_0_0_2v: ; @_Z54ncclDevFunc_AllReduce_RING_SIMPLE_SumPostDiv_u32_0_0_2v
; %bb.0:
	s_waitcnt vmcnt(0) expcnt(0) lgkmcnt(0)
	s_mov_b32 s4, s33
	s_mov_b32 s33, s32
	s_or_saveexec_b64 s[6:7], -1
	buffer_store_dword v43, off, s[0:3], s33 offset:16 ; 4-byte Folded Spill
	buffer_store_dword v44, off, s[0:3], s33 offset:20 ; 4-byte Folded Spill
	s_mov_b64 exec, s[6:7]
	v_writelane_b32 v44, s4, 0
	s_addk_i32 s32, 0x800
	buffer_store_dword v40, off, s[0:3], s33 offset:12 ; 4-byte Folded Spill
	buffer_store_dword v41, off, s[0:3], s33 offset:8 ; 4-byte Folded Spill
	;; [unrolled: 1-line block ×3, first 2 shown]
	buffer_store_dword v63, off, s[0:3], s33 ; 4-byte Folded Spill
	v_writelane_b32 v43, s34, 0
	v_writelane_b32 v43, s35, 1
	v_writelane_b32 v43, s36, 2
	v_writelane_b32 v43, s37, 3
	v_writelane_b32 v43, s38, 4
	v_writelane_b32 v43, s39, 5
	v_writelane_b32 v43, s40, 6
	v_writelane_b32 v43, s41, 7
	v_writelane_b32 v43, s42, 8
	v_writelane_b32 v43, s43, 9
	v_writelane_b32 v43, s44, 10
	v_writelane_b32 v43, s45, 11
	v_writelane_b32 v43, s46, 12
	v_writelane_b32 v43, s47, 13
	v_writelane_b32 v43, s48, 14
	v_writelane_b32 v43, s49, 15
	v_writelane_b32 v43, s50, 16
	v_writelane_b32 v43, s51, 17
	v_writelane_b32 v43, s52, 18
	v_writelane_b32 v43, s53, 19
	v_writelane_b32 v43, s54, 20
	v_writelane_b32 v43, s55, 21
	v_writelane_b32 v43, s56, 22
	v_writelane_b32 v43, s57, 23
	v_writelane_b32 v43, s58, 24
	v_writelane_b32 v43, s59, 25
	v_writelane_b32 v43, s60, 26
	v_writelane_b32 v43, s61, 27
	v_writelane_b32 v43, s62, 28
	v_writelane_b32 v43, s63, 29
	v_writelane_b32 v43, s64, 30
	v_writelane_b32 v43, s65, 31
	v_writelane_b32 v43, s66, 32
	v_writelane_b32 v43, s67, 33
	v_writelane_b32 v43, s68, 34
	v_writelane_b32 v43, s69, 35
	v_writelane_b32 v43, s70, 36
	v_writelane_b32 v43, s71, 37
	v_writelane_b32 v43, s72, 38
	v_writelane_b32 v43, s73, 39
	v_writelane_b32 v43, s74, 40
	v_writelane_b32 v43, s75, 41
	v_writelane_b32 v43, s76, 42
	v_writelane_b32 v43, s77, 43
	v_writelane_b32 v43, s78, 44
	v_writelane_b32 v43, s79, 45
	v_writelane_b32 v43, s80, 46
	v_writelane_b32 v43, s81, 47
	v_writelane_b32 v43, s82, 48
	v_writelane_b32 v43, s83, 49
	v_writelane_b32 v43, s84, 50
	v_writelane_b32 v43, s85, 51
	v_writelane_b32 v43, s86, 52
	v_writelane_b32 v43, s87, 53
	v_writelane_b32 v43, s88, 54
	v_writelane_b32 v43, s89, 55
	v_writelane_b32 v43, s90, 56
	v_writelane_b32 v43, s91, 57
	v_writelane_b32 v43, s92, 58
	v_writelane_b32 v43, s93, 59
	v_writelane_b32 v43, s94, 60
	v_writelane_b32 v43, s95, 61
	v_writelane_b32 v43, s30, 62
	v_writelane_b32 v43, s31, 63
	s_trap 2
	ds_read_b32 v0, v0
	v_mov_b32_e32 v40, v31
	v_and_b32_e32 v41, 0x3ff, v40
	s_mov_b32 s90, s12
	s_mov_b64 s[88:89], s[8:9]
	s_waitcnt lgkmcnt(0)
	v_cmp_lt_i32_e32 vcc, v41, v0
	s_and_saveexec_b64 s[4:5], vcc
	s_cbranch_execz .LBB5_5
; %bb.1:
	s_load_dword s6, s[88:89], 0x0
	v_mov_b32_e32 v1, 0
	v_mov_b32_e32 v4, v41
                                        ; implicit-def: $vgpr2
	s_waitcnt lgkmcnt(0)
	s_cmp_lt_u32 s90, s6
	s_cselect_b32 s6, 12, 18
	s_add_u32 s6, s88, s6
	s_addc_u32 s7, s89, 0
	global_load_ushort v1, v1, s[6:7]
	s_trap 2
	ds_read_b32 v3, v0
	s_mov_b64 s[6:7], 0
	s_waitcnt vmcnt(0) lgkmcnt(0)
	v_mul_lo_u32 v3, v3, v1
	s_branch .LBB5_3
.LBB5_2:                                ;   in Loop: Header=BB5_3 Depth=1
	s_or_b64 exec, exec, s[8:9]
	v_add_u32_e32 v4, v4, v1
	v_cmp_ge_i32_e32 vcc, v4, v0
	s_or_b64 s[6:7], vcc, s[6:7]
	v_add_u32_e32 v2, v2, v3
	s_andn2_b64 exec, exec, s[6:7]
	s_cbranch_execz .LBB5_5
.LBB5_3:                                ; =>This Inner Loop Header: Depth=1
	ds_read_b32 v5, v2
	s_waitcnt lgkmcnt(0)
	v_and_b32_e32 v5, 0x1000000, v5
	v_cmp_ne_u32_e32 vcc, 0, v5
	s_and_saveexec_b64 s[8:9], vcc
	s_cbranch_execz .LBB5_2
; %bb.4:                                ;   in Loop: Header=BB5_3 Depth=1
	ds_read_b64 v[6:7], v2 offset:104
	s_waitcnt lgkmcnt(0)
	flat_load_dwordx2 v[6:7], v[6:7]
	s_waitcnt vmcnt(0) lgkmcnt(0)
	ds_write_b64 v2, v[6:7] offset:104
	s_branch .LBB5_2
.LBB5_5:
	s_or_b64 exec, exec, s[4:5]
	s_waitcnt lgkmcnt(0)
	s_barrier
	s_trap 2
	ds_read_b32 v0, v0
	s_waitcnt lgkmcnt(0)
	v_cmp_gt_i32_e32 vcc, 1, v0
	s_cbranch_vccnz .LBB5_13
; %bb.6:
	s_mov_b32 s91, 0
	s_mov_b64 s[92:93], src_shared_base
	v_mov_b32_e32 v42, 6
	s_branch .LBB5_8
.LBB5_7:                                ;   in Loop: Header=BB5_8 Depth=1
	s_or_b64 exec, exec, s[94:95]
	s_trap 2
	ds_read_b32 v0, v0
	s_add_i32 s91, s91, 1
	s_waitcnt lgkmcnt(0)
	v_cmp_lt_i32_e32 vcc, s91, v0
	s_cbranch_vccz .LBB5_13
.LBB5_8:                                ; =>This Inner Loop Header: Depth=1
	s_trap 2
	ds_read_b32 v0, v0
	s_cmp_eq_u32 s91, 0
	s_cbranch_scc1 .LBB5_11
; %bb.9:                                ;   in Loop: Header=BB5_8 Depth=1
	s_trap 2
	s_waitcnt lgkmcnt(0)
	ds_read_b32 v1, v0
	s_waitcnt lgkmcnt(0)
	v_xor_b32_e32 v1, v1, v0
	v_and_b32_e32 v1, 0xff0000, v1
	v_cmp_eq_u32_e32 vcc, 0, v1
	s_cbranch_vccnz .LBB5_11
; %bb.10:                               ;   in Loop: Header=BB5_8 Depth=1
	s_barrier
	ds_read_b32 v0, v0
.LBB5_11:                               ;   in Loop: Header=BB5_8 Depth=1
	s_waitcnt lgkmcnt(0)
	v_lshlrev_b32_sdwa v1, v42, v0 dst_sel:DWORD dst_unused:UNUSED_PAD src0_sel:DWORD src1_sel:BYTE_2
	v_cmp_lt_u32_e32 vcc, v41, v1
	s_and_saveexec_b64 s[94:95], vcc
	s_cbranch_execz .LBB5_7
; %bb.12:                               ;   in Loop: Header=BB5_8 Depth=1
	s_mov_b64 s[8:9], s[88:89]
	s_mov_b32 s12, s90
	v_mov_b32_e32 v31, v40
	v_mov_b32_e32 v0, v41
	;; [unrolled: 1-line block ×3, first 2 shown]
	s_getpc_b64 s[4:5]
	s_add_u32 s4, s4, _ZN12_GLOBAL__N_17runRingIj14FuncSumPostDivIjE11ProtoSimpleILi2ELi2ELi0ELi2ELi0ELi0EELi0ELi0ELi2ELi0EEEviiP15ncclDevWorkColl@rel32@lo+4
	s_addc_u32 s5, s5, _ZN12_GLOBAL__N_17runRingIj14FuncSumPostDivIjE11ProtoSimpleILi2ELi2ELi0ELi2ELi0ELi0EELi0ELi0ELi2ELi0EEEviiP15ncclDevWorkColl@rel32@hi+12
	s_swappc_b64 s[30:31], s[4:5]
	s_branch .LBB5_7
.LBB5_13:
	buffer_load_dword v63, off, s[0:3], s33 ; 4-byte Folded Reload
	buffer_load_dword v42, off, s[0:3], s33 offset:4 ; 4-byte Folded Reload
	buffer_load_dword v41, off, s[0:3], s33 offset:8 ; 4-byte Folded Reload
	;; [unrolled: 1-line block ×3, first 2 shown]
	v_readlane_b32 s30, v43, 62
	v_readlane_b32 s31, v43, 63
	v_readlane_b32 s95, v43, 61
	v_readlane_b32 s94, v43, 60
	v_readlane_b32 s93, v43, 59
	v_readlane_b32 s92, v43, 58
	v_readlane_b32 s91, v43, 57
	v_readlane_b32 s90, v43, 56
	v_readlane_b32 s89, v43, 55
	v_readlane_b32 s88, v43, 54
	v_readlane_b32 s87, v43, 53
	v_readlane_b32 s86, v43, 52
	v_readlane_b32 s85, v43, 51
	v_readlane_b32 s84, v43, 50
	v_readlane_b32 s83, v43, 49
	v_readlane_b32 s82, v43, 48
	v_readlane_b32 s81, v43, 47
	v_readlane_b32 s80, v43, 46
	v_readlane_b32 s79, v43, 45
	v_readlane_b32 s78, v43, 44
	v_readlane_b32 s77, v43, 43
	v_readlane_b32 s76, v43, 42
	v_readlane_b32 s75, v43, 41
	v_readlane_b32 s74, v43, 40
	v_readlane_b32 s73, v43, 39
	v_readlane_b32 s72, v43, 38
	v_readlane_b32 s71, v43, 37
	v_readlane_b32 s70, v43, 36
	v_readlane_b32 s69, v43, 35
	v_readlane_b32 s68, v43, 34
	v_readlane_b32 s67, v43, 33
	v_readlane_b32 s66, v43, 32
	v_readlane_b32 s65, v43, 31
	v_readlane_b32 s64, v43, 30
	v_readlane_b32 s63, v43, 29
	v_readlane_b32 s62, v43, 28
	v_readlane_b32 s61, v43, 27
	v_readlane_b32 s60, v43, 26
	v_readlane_b32 s59, v43, 25
	v_readlane_b32 s58, v43, 24
	v_readlane_b32 s57, v43, 23
	v_readlane_b32 s56, v43, 22
	v_readlane_b32 s55, v43, 21
	v_readlane_b32 s54, v43, 20
	v_readlane_b32 s53, v43, 19
	v_readlane_b32 s52, v43, 18
	v_readlane_b32 s51, v43, 17
	v_readlane_b32 s50, v43, 16
	v_readlane_b32 s49, v43, 15
	v_readlane_b32 s48, v43, 14
	v_readlane_b32 s47, v43, 13
	v_readlane_b32 s46, v43, 12
	v_readlane_b32 s45, v43, 11
	v_readlane_b32 s44, v43, 10
	v_readlane_b32 s43, v43, 9
	v_readlane_b32 s42, v43, 8
	v_readlane_b32 s41, v43, 7
	v_readlane_b32 s40, v43, 6
	v_readlane_b32 s39, v43, 5
	v_readlane_b32 s38, v43, 4
	v_readlane_b32 s37, v43, 3
	v_readlane_b32 s36, v43, 2
	v_readlane_b32 s35, v43, 1
	v_readlane_b32 s34, v43, 0
	v_readlane_b32 s4, v44, 0
	s_or_saveexec_b64 s[6:7], -1
	buffer_load_dword v43, off, s[0:3], s33 offset:16 ; 4-byte Folded Reload
	buffer_load_dword v44, off, s[0:3], s33 offset:20 ; 4-byte Folded Reload
	s_mov_b64 exec, s[6:7]
	s_addk_i32 s32, 0xf800
	s_mov_b32 s33, s4
	s_waitcnt vmcnt(0)
	s_setpc_b64 s[30:31]
.Lfunc_end5:
	.size	_Z54ncclDevFunc_AllReduce_RING_SIMPLE_SumPostDiv_u32_0_0_2v, .Lfunc_end5-_Z54ncclDevFunc_AllReduce_RING_SIMPLE_SumPostDiv_u32_0_0_2v
                                        ; -- End function
	.section	.AMDGPU.csdata,"",@progbits
; Function info:
; codeLenInByte = 1632
; NumSgprs: 100
; NumVgprs: 64
; NumAgprs: 40
; TotalNumVgprs: 104
; ScratchSize: 208
; MemoryBound: 0
	.text
	.p2align	2                               ; -- Begin function _ZN12_GLOBAL__N_17runRingIj14FuncSumPostDivIjE11ProtoSimpleILi2ELi2ELi0ELi4ELi0ELi0EELi0ELi0ELi4ELi0EEEviiP15ncclDevWorkColl
	.type	_ZN12_GLOBAL__N_17runRingIj14FuncSumPostDivIjE11ProtoSimpleILi2ELi2ELi0ELi4ELi0ELi0EELi0ELi0ELi4ELi0EEEviiP15ncclDevWorkColl,@function
_ZN12_GLOBAL__N_17runRingIj14FuncSumPostDivIjE11ProtoSimpleILi2ELi2ELi0ELi4ELi0ELi0EELi0ELi0ELi4ELi0EEEviiP15ncclDevWorkColl: ; @_ZN12_GLOBAL__N_17runRingIj14FuncSumPostDivIjE11ProtoSimpleILi2ELi2ELi0ELi4ELi0ELi0EELi0ELi0ELi4ELi0EEEviiP15ncclDevWorkColl
; %bb.0:
	s_waitcnt vmcnt(0) expcnt(0) lgkmcnt(0)
	s_mov_b32 s4, s33
	s_mov_b32 s33, s32
	s_or_saveexec_b64 s[6:7], -1
	buffer_store_dword v63, off, s[0:3], s33 offset:100 ; 4-byte Folded Spill
	s_mov_b64 exec, s[6:7]
	v_writelane_b32 v63, s4, 58
	s_addk_i32 s32, 0x1c00
	buffer_store_dword v40, off, s[0:3], s33 offset:88 ; 4-byte Folded Spill
	buffer_store_dword v41, off, s[0:3], s33 offset:84 ; 4-byte Folded Spill
	;; [unrolled: 1-line block ×22, first 2 shown]
	buffer_store_dword a39, off, s[0:3], s33 ; 4-byte Folded Spill
	v_writelane_b32 v63, s34, 0
	v_writelane_b32 v63, s35, 1
	;; [unrolled: 1-line block ×58, first 2 shown]
	v_mov_b32_e32 v18, v1
	s_trap 2
	flat_load_dword v1, v[2:3]
	ds_read_b32 v6, v0
	v_mov_b32_e32 v58, v0
                                        ; implicit-def: $vgpr4_vgpr5
                                        ; implicit-def: $agpr4_agpr5
                                        ; implicit-def: $vgpr8_vgpr9
	s_waitcnt lgkmcnt(0)
	v_readfirstlane_b32 s72, v6
	s_waitcnt vmcnt(0)
	v_cmp_ne_u32_sdwa s[4:5], v1, v6 src0_sel:BYTE_0 src1_sel:DWORD
	s_and_saveexec_b64 s[6:7], s[4:5]
	s_xor_b64 s[4:5], exec, s[6:7]
	s_cbranch_execz .LBB6_6
; %bb.1:
	v_not_b32_sdwa v0, v1 dst_sel:DWORD dst_unused:UNUSED_PAD src0_sel:BYTE_0
	v_cmp_ne_u32_sdwa s[6:7], v1, v6 src0_sel:BYTE_1 src1_sel:DWORD
                                        ; implicit-def: $vgpr4_vgpr5
                                        ; implicit-def: $agpr4_agpr5
                                        ; implicit-def: $vgpr8_vgpr9
	s_and_saveexec_b64 s[10:11], s[6:7]
	s_xor_b64 s[6:7], exec, s[10:11]
	s_cbranch_execz .LBB6_3
; %bb.2:
	flat_load_dwordx4 v[8:11], v[2:3] offset:72
	flat_load_dwordx2 v[4:5], v[2:3] offset:96
	v_add_u32_e32 v0, v6, v0
	v_ashrrev_i32_e32 v1, 31, v0
	s_waitcnt vmcnt(0) lgkmcnt(0)
	v_mul_lo_u32 v1, v10, v1
	v_mad_u64_u32 v[6:7], s[10:11], v10, v0, v[8:9]
	v_mul_lo_u32 v0, v11, v0
	v_add3_u32 v7, v0, v7, v1
	v_accvgpr_write_b32 a4, v6
	v_lshrrev_b64 v[4:5], 14, v[4:5]
	v_accvgpr_write_b32 a5, v7
	v_pk_mov_b32 v[8:9], v[10:11], v[10:11] op_sel:[0,1]
                                        ; implicit-def: $vgpr1
                                        ; implicit-def: $vgpr0
.LBB6_3:
	s_andn2_saveexec_b64 s[6:7], s[6:7]
	s_cbranch_execz .LBB6_5
; %bb.4:
	flat_load_dwordx4 v[4:7], v[2:3] offset:72
	flat_load_dwordx4 v[8:11], v[2:3] offset:88
	v_add_u32_sdwa v0, v1, v0 dst_sel:DWORD dst_unused:UNUSED_PAD src0_sel:BYTE_1 src1_sel:DWORD
	v_ashrrev_i32_e32 v1, 31, v0
	s_waitcnt vmcnt(0) lgkmcnt(0)
	v_mul_lo_u32 v1, v6, v1
	v_mad_u64_u32 v[4:5], s[10:11], v6, v0, v[4:5]
	v_mul_lo_u32 v0, v7, v0
	v_add3_u32 v5, v0, v5, v1
	v_accvgpr_write_b32 a4, v4
	v_accvgpr_write_b32 a5, v5
	v_lshrrev_b32_e32 v4, 3, v11
.LBB6_5:
	s_or_b64 exec, exec, s[6:7]
.LBB6_6:
	s_andn2_saveexec_b64 s[4:5], s[4:5]
	s_cbranch_execz .LBB6_8
; %bb.7:
	flat_load_dwordx2 v[0:1], v[2:3] offset:96
	flat_load_dwordx2 v[8:9], v[2:3] offset:72
	s_waitcnt vmcnt(0) lgkmcnt(0)
	v_lshlrev_b64 v[4:5], 7, v[0:1]
	v_pk_mov_b32 v[0:1], 0, 0
	v_accvgpr_write_b32 a5, v1
	v_accvgpr_write_b32 a4, v0
.LBB6_8:
	s_or_b64 exec, exec, s[4:5]
	s_trap 2
	ds_read_b64 v[0:1], v0
	s_waitcnt lgkmcnt(0)
	v_cmp_ne_u32_e32 vcc, -1, v0
	v_cndmask_b32_e64 v5, 0, 1, vcc
	v_cmp_ne_u32_e32 vcc, -1, v1
	v_addc_co_u32_e64 v0, s[4:5], 0, v5, vcc
	v_lshlrev_b32_e32 v1, 1, v0
	v_cmp_le_i32_e64 s[4:5], v1, v18
	s_and_saveexec_b64 s[6:7], s[4:5]
	s_xor_b64 s[46:47], exec, s[6:7]
	s_cbranch_execz .LBB6_1261
; %bb.9:
	flat_load_dwordx2 v[14:15], v[2:3] offset:104
	flat_load_dwordx4 v[10:13], v[2:3] offset:16
	flat_load_ushort v7, v[2:3] offset:8
	flat_load_dword v6, v[2:3] offset:4
	s_trap 2
	s_load_dword s4, s[8:9], 0x0
	v_mov_b32_e32 v1, 0
	v_accvgpr_write_b32 a6, v8
	v_accvgpr_write_b32 a7, v9
	v_mov_b32_e32 v62, 4
	s_waitcnt lgkmcnt(0)
	s_cmp_lt_u32 s12, s4
	s_cselect_b32 s4, 12, 18
	s_add_u32 s4, s8, s4
	s_addc_u32 s5, s9, 0
	global_load_ushort v19, v1, s[4:5]
	ds_read_b32 v1, v0
	v_cmp_ge_i32_e64 s[4:5], v58, v5
	s_waitcnt lgkmcnt(0)
	v_readfirstlane_b32 s18, v1
	s_and_saveexec_b64 s[6:7], s[4:5]
	s_cbranch_execz .LBB6_19
; %bb.10:
	v_cmp_le_u32_e64 s[4:5], v0, v58
                                        ; implicit-def: $vgpr62
	s_and_saveexec_b64 s[10:11], s[4:5]
	s_xor_b64 s[4:5], exec, s[10:11]
	s_cbranch_execz .LBB6_16
; %bb.11:
	v_cndmask_b32_e64 v1, 0, 1, vcc
	v_sub_u32_e32 v1, v18, v1
	v_cmp_ge_u32_e32 vcc, v58, v1
                                        ; implicit-def: $sgpr12
	s_and_saveexec_b64 s[10:11], vcc
	s_xor_b64 s[10:11], exec, s[10:11]
; %bb.12:
	s_mov_b32 s12, 16
                                        ; implicit-def: $vgpr0
; %bb.13:
	s_or_saveexec_b64 s[10:11], s[10:11]
	v_mov_b32_e32 v62, s12
	s_xor_b64 exec, exec, s[10:11]
; %bb.14:
	v_sub_u32_e32 v0, v18, v0
	v_cmp_ge_i32_e32 vcc, v58, v0
	v_cndmask_b32_e64 v0, 0, 1, vcc
	v_lshlrev_b32_e32 v62, 5, v0
; %bb.15:
	s_or_b64 exec, exec, s[10:11]
.LBB6_16:
	s_andn2_saveexec_b64 s[4:5], s[4:5]
; %bb.17:
	v_mov_b32_e32 v62, 8
; %bb.18:
	s_or_b64 exec, exec, s[4:5]
.LBB6_19:
	s_or_b64 exec, exec, s[6:7]
	v_and_b32_e32 v0, 36, v62
	v_cmp_ne_u32_e32 vcc, 0, v0
	v_mov_b32_e32 v8, -1
	s_and_saveexec_b64 s[4:5], vcc
	s_cbranch_execz .LBB6_21
; %bb.20:
	s_trap 2
	ds_read_b32 v8, v0
.LBB6_21:
	s_or_b64 exec, exec, s[4:5]
	v_and_b32_e32 v0, 24, v62
	v_cmp_ne_u32_e64 s[4:5], 0, v0
	s_and_saveexec_b64 s[6:7], s[4:5]
	s_cbranch_execz .LBB6_23
; %bb.22:
	s_trap 2
	s_waitcnt lgkmcnt(0)
	ds_read_b32 v8, v0
.LBB6_23:
	s_or_b64 exec, exec, s[6:7]
	v_pk_mov_b32 v[20:21], 0, 0
	s_waitcnt vmcnt(0)
	v_lshrrev_b64 v[0:1], 31, v[6:7]
	v_accvgpr_write_b32 a25, v21
	v_and_b32_e32 v0, 3, v0
	v_accvgpr_write_b32 a24, v20
                                        ; implicit-def: $agpr8_agpr9
                                        ; implicit-def: $vgpr30
                                        ; implicit-def: $vgpr32_vgpr33
                                        ; implicit-def: $vgpr36_vgpr37
                                        ; implicit-def: $vgpr50_vgpr51
                                        ; implicit-def: $vgpr34_vgpr35
	s_and_saveexec_b64 s[4:5], vcc
	s_cbranch_execz .LBB6_33
; %bb.24:
	s_trap 2
	ds_read_b64 v[6:7], v0
	s_waitcnt lgkmcnt(1)
	v_ashrrev_i32_e32 v9, 31, v8
	v_lshlrev_b64 v[16:17], 3, v[8:9]
	v_and_b32_e32 v1, 0xffff, v0
	s_movk_i32 s6, 0xa8
	s_waitcnt lgkmcnt(0)
	v_add_co_u32_e32 v6, vcc, v6, v16
	v_addc_co_u32_e32 v7, vcc, v7, v17, vcc
	flat_load_dwordx2 v[6:7], v[6:7]
                                        ; implicit-def: $agpr8_agpr9
	s_waitcnt vmcnt(0) lgkmcnt(0)
	v_mad_u64_u32 v[6:7], s[6:7], v1, s6, v[6:7]
	flat_load_dword v1, v[6:7] offset:640
	v_add_co_u32_e32 v20, vcc, 0x1f8, v6
	v_addc_co_u32_e32 v21, vcc, 0, v7, vcc
	s_waitcnt vmcnt(0) lgkmcnt(0)
	v_cmp_eq_u32_e32 vcc, 1, v1
	s_and_saveexec_b64 s[6:7], vcc
	s_cbranch_execz .LBB6_26
; %bb.25:
	flat_load_dwordx2 v[16:17], v[20:21] offset:144
	v_or_b32_e32 v62, 0x2000, v62
	s_waitcnt vmcnt(0) lgkmcnt(0)
	flat_load_dwordx2 v[6:7], v[16:17]
	s_trap 2
	v_accvgpr_write_b32 a8, v16
	v_accvgpr_write_b32 a9, v17
	s_waitcnt vmcnt(0) lgkmcnt(0)
	ds_write_b64 v0, v[6:7]
	flat_load_dwordx2 v[6:7], v[16:17] offset:8
	s_waitcnt vmcnt(0) lgkmcnt(0)
	ds_write_b64 v0, v[6:7]
	flat_load_dwordx2 v[6:7], v[16:17] offset:16
	s_waitcnt vmcnt(0) lgkmcnt(0)
	ds_write_b64 v0, v[6:7]
.LBB6_26:
	s_or_b64 exec, exec, s[6:7]
	flat_load_dwordx2 v[6:7], v[20:21] offset:104
	v_and_b32_e32 v1, 32, v62
                                        ; implicit-def: $vgpr34_vgpr35
	s_waitcnt vmcnt(0) lgkmcnt(0)
	v_add_co_u32_e32 v6, vcc, 3, v6
	v_addc_co_u32_e32 v33, vcc, 0, v7, vcc
	v_and_b32_e32 v32, -4, v6
	v_cmp_ne_u32_e32 vcc, 0, v1
	s_and_saveexec_b64 s[6:7], vcc
	s_cbranch_execz .LBB6_28
; %bb.27:
	flat_load_dwordx2 v[34:35], v[20:21] offset:56
	s_waitcnt vmcnt(0) lgkmcnt(0)
	flat_store_dwordx2 v[34:35], v[32:33]
.LBB6_28:
	s_or_b64 exec, exec, s[6:7]
	v_pk_mov_b32 v[6:7], 0, 0
	v_and_b32_e32 v1, 4, v62
	v_accvgpr_write_b32 a25, v7
	v_cmp_ne_u32_e32 vcc, 0, v1
	v_accvgpr_write_b32 a24, v6
                                        ; implicit-def: $vgpr30
                                        ; implicit-def: $vgpr36_vgpr37
                                        ; implicit-def: $vgpr50_vgpr51
	s_and_saveexec_b64 s[6:7], vcc
	s_cbranch_execz .LBB6_32
; %bb.29:
	v_and_b32_e32 v1, 0x800, v62
	v_cmp_eq_u32_e32 vcc, 0, v1
	s_and_saveexec_b64 s[10:11], vcc
	s_cbranch_execz .LBB6_31
; %bb.30:
	s_trap 2
	ds_write_b64 v0, v[20:21]
.LBB6_31:
	s_or_b64 exec, exec, s[10:11]
	flat_load_dwordx2 v[34:35], v[20:21] offset:48
	v_or_b32_e32 v9, 0x100, v62
	s_waitcnt vmcnt(0) lgkmcnt(0)
	flat_load_dwordx2 v[50:51], v[34:35] glc
	flat_load_dword v1, v[20:21] offset:72
	flat_load_dwordx2 v[6:7], v[20:21] offset:96
	flat_load_dwordx2 v[36:37], v[20:21] offset:16
	s_waitcnt vmcnt(0) lgkmcnt(0)
	v_ashrrev_i32_e32 v30, 2, v1
	v_accvgpr_write_b32 a25, v7
	v_cmp_eq_u64_e32 vcc, 0, v[6:7]
	v_accvgpr_write_b32 a24, v6
	v_cndmask_b32_e32 v62, v9, v62, vcc
.LBB6_32:
	s_or_b64 exec, exec, s[6:7]
.LBB6_33:
	s_or_b64 exec, exec, s[4:5]
	v_and_b32_e32 v1, 24, v62
	v_cmp_ne_u32_e32 vcc, 0, v1
                                        ; implicit-def: $vgpr46_vgpr47
	s_and_saveexec_b64 s[4:5], vcc
	s_cbranch_execz .LBB6_41
; %bb.34:
	s_trap 2
	ds_read_b64 v[6:7], v0
	s_waitcnt lgkmcnt(0)
	v_ashrrev_i32_e32 v9, 31, v8
	v_lshlrev_b64 v[8:9], 3, v[8:9]
	v_and_b32_e32 v0, 0xffff, v0
	s_movk_i32 s6, 0xa8
	v_add_co_u32_e32 v6, vcc, v6, v8
	v_addc_co_u32_e32 v7, vcc, v7, v9, vcc
	flat_load_dwordx2 v[6:7], v[6:7]
                                        ; implicit-def: $vgpr46_vgpr47
	s_waitcnt vmcnt(0) lgkmcnt(0)
	v_mad_u64_u32 v[20:21], s[6:7], v0, s6, v[6:7]
	flat_load_dwordx4 v[6:9], v[20:21] offset:96
	v_or_b32_e32 v0, 0x100, v62
	s_waitcnt vmcnt(0) lgkmcnt(0)
	v_cmp_eq_u64_e32 vcc, 0, v[6:7]
	v_cndmask_b32_e32 v62, v0, v62, vcc
	v_accvgpr_write_b32 a27, v9
	v_and_b32_e32 v0, 16, v62
	v_accvgpr_write_b32 a26, v8
	v_accvgpr_write_b32 a25, v7
	;; [unrolled: 1-line block ×3, first 2 shown]
	v_cmp_ne_u32_e32 vcc, 0, v0
	s_and_saveexec_b64 s[6:7], vcc
	s_cbranch_execz .LBB6_36
; %bb.35:
	flat_load_dwordx2 v[46:47], v[20:21] offset:120
	flat_load_dwordx2 v[34:35], v[20:21] offset:48
	;; [unrolled: 1-line block ×3, first 2 shown]
.LBB6_36:
	s_or_b64 exec, exec, s[6:7]
	v_accvgpr_read_b32 v6, a24
	v_accvgpr_read_b32 v8, a26
	;; [unrolled: 1-line block ×3, first 2 shown]
	v_add_co_u32_e32 v0, vcc, 3, v8
	v_addc_co_u32_e32 v33, vcc, 0, v9, vcc
	v_and_b32_e32 v32, -4, v0
	v_and_b32_e32 v0, 8, v62
	v_cmp_ne_u32_e32 vcc, 0, v0
	v_accvgpr_read_b32 v7, a25
	s_and_saveexec_b64 s[6:7], vcc
	s_cbranch_execz .LBB6_40
; %bb.37:
	v_and_b32_e32 v0, 0x800, v62
	v_cmp_eq_u32_e32 vcc, 0, v0
	s_and_saveexec_b64 s[10:11], vcc
	s_cbranch_execz .LBB6_39
; %bb.38:
	s_trap 2
	ds_write_b64 v0, v[20:21]
.LBB6_39:
	s_or_b64 exec, exec, s[10:11]
	s_waitcnt vmcnt(0) lgkmcnt(0)
	flat_load_dwordx2 v[34:35], v[20:21] offset:56
	s_waitcnt vmcnt(0) lgkmcnt(0)
	flat_load_dwordx2 v[50:51], v[34:35] glc
	flat_load_dword v0, v[20:21] offset:72
	flat_load_dwordx2 v[36:37], v[20:21] offset:16
	s_waitcnt vmcnt(0) lgkmcnt(0)
	v_ashrrev_i32_e32 v30, 2, v0
.LBB6_40:
	s_or_b64 exec, exec, s[6:7]
.LBB6_41:
	s_or_b64 exec, exec, s[4:5]
	v_cmp_eq_u32_e64 s[4:5], 0, v58
	s_and_saveexec_b64 s[6:7], s[4:5]
	s_cbranch_execz .LBB6_43
; %bb.42:
	flat_load_dwordx2 v[0:1], v[2:3] offset:32
	s_waitcnt lgkmcnt(0)
	v_mov_b32_e32 v8, v12
	v_mov_b32_e32 v9, v13
	s_waitcnt vmcnt(0)
	ds_write2_b64 v0, v[8:9], v[10:11] offset1:1
	s_trap 2
	ds_write_b64 v0, v[0:1]
	ds_write_b64 v0, v[14:15]
.LBB6_43:
	s_or_b64 exec, exec, s[6:7]
	v_accvgpr_read_b32 v11, a7
	v_accvgpr_read_b32 v10, a6
	s_mov_b64 s[50:51], 0
	v_cmp_lt_i64_e32 vcc, 0, v[10:11]
	v_pk_mov_b32 v[48:49], 0, 0
	s_and_saveexec_b64 s[48:49], vcc
	s_cbranch_execz .LBB6_1225
; %bb.44:
	flat_load_dword v2, v[2:3] offset:4
	v_and_b32_e32 v6, 0xfffff80, v4
	s_ashr_i32 s19, s18, 31
	v_cmp_ge_i32_e32 vcc, v58, v18
	v_and_b32_e32 v0, 63, v31
	v_cmp_eq_u32_e64 s[6:7], 64, v18
	v_cmp_ne_u32_e64 s[10:11], 64, v18
	v_accvgpr_write_b32 a2, v19
	v_cmp_ne_u32_sdwa s[52:53], v19, v18 src0_sel:WORD_0 src1_sel:DWORD
	v_accvgpr_write_b32 a0, v18
	v_lshrrev_b32_e32 v54, 6, v18
	v_ashrrev_i32_e32 v1, 31, v58
	v_mov_b32_e32 v3, 0xfffff000
	v_mad_i64_i32 v[18:19], s[16:17], v6, s72, 0
	s_movk_i32 s20, 0x1000
	v_mov_b32_e32 v4, 0xfffff800
	s_lshr_b32 s19, s19, 29
	v_cmp_eq_u32_e64 s[16:17], 0, v0
	v_lshrrev_b32_e32 v0, 26, v1
	v_lshl_add_u32 v1, v54, 12, v3
	v_lshl_add_u32 v3, v54, 11, v4
	s_add_i32 s24, s18, s19
	v_ashrrev_i32_e32 v4, 31, v1
	v_add_co_u32_e64 v28, s[18:19], s20, v1
	s_movk_i32 s22, 0x800
	v_addc_co_u32_e64 v29, s[18:19], 0, v4, s[18:19]
	s_ashr_i32 s73, s72, 31
	v_lshlrev_b32_e32 v55, 10, v54
	s_waitcnt lgkmcnt(0)
	v_ashrrev_i32_e32 v8, 31, v3
	s_ashr_i32 s25, s24, 5
	v_add_co_u32_e64 v42, s[18:19], s22, v3
	v_accvgpr_write_b32 a1, v31
	s_movk_i32 s21, 0x400
	v_add_u32_e32 v0, v58, v0
	v_add_u32_e32 v40, 0xfffffc00, v55
	v_addc_co_u32_e64 v31, s[18:19], 0, v8, s[18:19]
	s_add_u32 s76, s72, -1
	v_lshlrev_b32_e32 v60, 8, v54
	v_ashrrev_i32_e32 v59, 6, v0
	v_and_b32_e32 v0, 0xffffffc0, v0
	v_ashrrev_i32_e32 v9, 31, v40
	v_add_co_u32_e64 v1, s[18:19], s21, v40
	s_addc_u32 s77, s73, -1
	s_add_i32 s78, s72, s72
	s_not_b32 s22, s72
	s_movk_i32 s23, 0x100
	v_add_u32_e32 v26, 0xffffff00, v60
	v_sub_u32_e32 v4, v58, v0
	v_addc_co_u32_e64 v0, s[18:19], 0, v9, s[18:19]
	s_cmp_gt_i32 s72, 0
	v_add_co_u32_e64 v43, s[18:19], s23, v26
	s_cselect_b32 s22, s22, -1
	s_ashr_i32 s23, s24, 31
	s_add_i32 s79, s22, s78
	s_lshr_b32 s22, s23, 28
	s_add_i32 s25, s25, s22
	s_ashr_i32 s80, s79, 31
	s_ashr_i32 s81, s25, 4
	v_mov_b32_e32 v52, 0
	s_cmp_gt_i32 s72, 2
	v_accvgpr_write_b32 a10, v20
	v_mov_b32_e32 v7, v52
	v_lshlrev_b32_e32 v3, 12, v59
	s_cselect_b64 s[54:55], -1, 0
	s_add_i32 s26, s72, 1
	v_accvgpr_write_b32 a11, v21
	v_accvgpr_write_b32 a31, v7
	v_lshl_add_u32 v20, v4, 4, v3
	v_accvgpr_write_b32 a30, v6
	v_ashrrev_i32_e32 v39, 31, v26
	v_ashrrev_i32_e32 v45, 31, v30
	v_addc_co_u32_e64 v61, s[18:19], 0, v39, s[18:19]
	s_waitcnt vmcnt(0)
	v_and_b32_e32 v2, 1, v2
	v_cmp_eq_u32_e64 s[22:23], 1, v2
	s_xor_b64 s[56:57], s[22:23], -1
	v_lshlrev_b32_e32 v2, 11, v59
	s_cmp_le_i32 s72, s26
	v_sub_u32_e32 v6, v20, v2
	s_cselect_b32 s27, s72, 0
	v_ashrrev_i32_e32 v23, 31, v20
	v_ashrrev_i32_e32 v3, 31, v6
	s_sub_i32 s82, s26, s27
	v_pk_mov_b32 v[24:25], 0, 0
	v_accvgpr_write_b32 a12, v46
	v_accvgpr_write_b32 a16, v18
	s_movk_i32 s74, 0xfc00
	s_movk_i32 s75, 0xff00
	v_cmp_eq_u64_e64 s[12:13], 0, v[46:47]
	v_cmp_ne_u64_e64 s[14:15], 0, v[46:47]
	v_accvgpr_write_b32 a21, v9
	v_cmp_gt_i32_e64 s[18:19], 1, v4
	v_cmp_lt_i32_e64 s[20:21], v4, v5
	v_accvgpr_write_b32 a20, v4
	v_cmp_le_i32_e64 s[24:25], v4, v5
	v_accvgpr_write_b32 a27, v3
	s_ashr_i32 s83, s82, 31
	s_add_i32 s84, s72, -2
	s_xor_b64 s[58:59], vcc, -1
	s_movk_i32 s85, 0x270e
	v_mov_b32_e32 v57, 1
	s_movk_i32 s86, 0x108
	v_pk_mov_b32 v[48:49], v[24:25], v[24:25] op_sel:[0,1]
	v_accvgpr_write_b32 a13, v47
	v_accvgpr_write_b32 a15, v45
	;; [unrolled: 1-line block ×6, first 2 shown]
	v_mov_b32_e32 v2, v20
	v_mov_b32_e32 v7, v23
	s_trap 2
	buffer_store_dword v2, off, s[0:3], s33 offset:92 ; 4-byte Folded Spill
	s_nop 0
	buffer_store_dword v3, off, s[0:3], s33 offset:96 ; 4-byte Folded Spill
	s_branch .LBB6_47
.LBB6_45:                               ;   in Loop: Header=BB6_47 Depth=1
	s_or_b64 exec, exec, s[30:31]
.LBB6_46:                               ;   in Loop: Header=BB6_47 Depth=1
	s_or_b64 exec, exec, s[28:29]
	v_add_co_u32_e32 v24, vcc, v24, v18
	v_accvgpr_read_b32 v11, a7
	v_addc_co_u32_e32 v25, vcc, v25, v19, vcc
	v_accvgpr_read_b32 v10, a6
	v_cmp_ge_i64_e32 vcc, v[24:25], v[10:11]
	s_or_b64 s[50:51], vcc, s[50:51]
	s_andn2_b64 exec, exec, s[50:51]
	s_cbranch_execz .LBB6_1224
.LBB6_47:                               ; =>This Loop Header: Depth=1
                                        ;     Child Loop BB6_57 Depth 2
                                        ;       Child Loop BB6_65 Depth 3
                                        ;       Child Loop BB6_89 Depth 3
	;; [unrolled: 1-line block ×9, first 2 shown]
                                        ;     Child Loop BB6_199 Depth 2
                                        ;       Child Loop BB6_205 Depth 3
                                        ;       Child Loop BB6_234 Depth 3
                                        ;       Child Loop BB6_253 Depth 3
                                        ;     Child Loop BB6_271 Depth 2
                                        ;       Child Loop BB6_274 Depth 3
                                        ;         Child Loop BB6_282 Depth 4
                                        ;         Child Loop BB6_310 Depth 4
	;; [unrolled: 1-line block ×9, first 2 shown]
                                        ;       Child Loop BB6_420 Depth 3
                                        ;         Child Loop BB6_426 Depth 4
                                        ;         Child Loop BB6_466 Depth 4
	;; [unrolled: 1-line block ×3, first 2 shown]
                                        ;     Child Loop BB6_496 Depth 2
                                        ;       Child Loop BB6_504 Depth 3
                                        ;       Child Loop BB6_532 Depth 3
	;; [unrolled: 1-line block ×9, first 2 shown]
                                        ;         Child Loop BB6_578 Depth 4
                                        ;       Child Loop BB6_590 Depth 3
                                        ;       Child Loop BB6_595 Depth 3
                                        ;         Child Loop BB6_596 Depth 4
                                        ;       Child Loop BB6_639 Depth 3
                                        ;       Child Loop BB6_662 Depth 3
                                        ;     Child Loop BB6_681 Depth 2
                                        ;       Child Loop BB6_687 Depth 3
                                        ;       Child Loop BB6_719 Depth 3
	;; [unrolled: 1-line block ×3, first 2 shown]
                                        ;     Child Loop BB6_756 Depth 2
                                        ;       Child Loop BB6_759 Depth 3
                                        ;         Child Loop BB6_767 Depth 4
                                        ;         Child Loop BB6_795 Depth 4
	;; [unrolled: 1-line block ×9, first 2 shown]
                                        ;           Child Loop BB6_855 Depth 5
                                        ;         Child Loop BB6_864 Depth 4
                                        ;         Child Loop BB6_869 Depth 4
                                        ;           Child Loop BB6_870 Depth 5
                                        ;         Child Loop BB6_842 Depth 4
                                        ;         Child Loop BB6_921 Depth 4
                                        ;       Child Loop BB6_940 Depth 3
                                        ;         Child Loop BB6_946 Depth 4
                                        ;         Child Loop BB6_978 Depth 4
	;; [unrolled: 1-line block ×3, first 2 shown]
                                        ;     Child Loop BB6_1018 Depth 2
                                        ;       Child Loop BB6_1026 Depth 3
                                        ;       Child Loop BB6_1050 Depth 3
	;; [unrolled: 1-line block ×9, first 2 shown]
                                        ;     Child Loop BB6_1158 Depth 2
                                        ;       Child Loop BB6_1164 Depth 3
                                        ;       Child Loop BB6_1188 Depth 3
	;; [unrolled: 1-line block ×3, first 2 shown]
	v_sub_co_u32_e32 v2, vcc, v10, v24
	v_subb_co_u32_e32 v3, vcc, v11, v25, vcc
	v_accvgpr_write_b32 a33, v3
	v_accvgpr_write_b32 a32, v2
	v_cmp_lt_i64_e32 vcc, v[2:3], v[18:19]
	s_and_saveexec_b64 s[28:29], vcc
	s_cbranch_execz .LBB6_53
; %bb.48:                               ;   in Loop: Header=BB6_47 Depth=1
	v_accvgpr_read_b32 v4, a32
	v_mov_b32_e32 v2, s77
	v_accvgpr_read_b32 v5, a33
	v_add_co_u32_e32 v4, vcc, s76, v4
	v_addc_co_u32_e32 v5, vcc, v2, v5, vcc
	v_or_b32_e32 v53, s73, v5
	v_cmp_ne_u64_e32 vcc, 0, v[52:53]
                                        ; implicit-def: $vgpr2_vgpr3
	s_and_saveexec_b64 s[26:27], vcc
	s_xor_b64 s[30:31], exec, s[26:27]
	s_cbranch_execz .LBB6_50
; %bb.49:                               ;   in Loop: Header=BB6_47 Depth=1
	s_add_u32 s26, s72, s73
	s_mov_b32 s34, s73
	s_mov_b32 s35, s73
	s_addc_u32 s27, s73, s73
	s_xor_b64 s[36:37], s[26:27], s[34:35]
	v_cvt_f32_u32_e32 v2, s36
	v_cvt_f32_u32_e32 v3, s37
	s_sub_u32 s26, 0, s36
	s_subb_u32 s27, 0, s37
	v_mac_f32_e32 v2, 0x4f800000, v3
	v_rcp_f32_e32 v2, v2
	v_mul_f32_e32 v2, 0x5f7ffffc, v2
	v_mul_f32_e32 v3, 0x2f800000, v2
	v_trunc_f32_e32 v3, v3
	v_mac_f32_e32 v2, 0xcf800000, v3
	v_cvt_u32_f32_e32 v3, v3
	v_cvt_u32_f32_e32 v2, v2
	v_mul_lo_u32 v8, s26, v3
	v_mul_hi_u32 v10, s26, v2
	v_mul_lo_u32 v9, s27, v2
	v_add_u32_e32 v8, v10, v8
	v_mul_lo_u32 v11, s26, v2
	v_add_u32_e32 v8, v8, v9
	v_mul_lo_u32 v10, v2, v8
	v_mul_hi_u32 v12, v2, v11
	v_mul_hi_u32 v9, v2, v8
	v_add_co_u32_e32 v10, vcc, v12, v10
	v_addc_co_u32_e32 v9, vcc, 0, v9, vcc
	v_mul_hi_u32 v13, v3, v11
	v_mul_lo_u32 v11, v3, v11
	v_add_co_u32_e32 v10, vcc, v10, v11
	v_mul_hi_u32 v12, v3, v8
	v_addc_co_u32_e32 v9, vcc, v9, v13, vcc
	v_addc_co_u32_e32 v10, vcc, 0, v12, vcc
	v_mul_lo_u32 v8, v3, v8
	v_add_co_u32_e32 v8, vcc, v9, v8
	v_addc_co_u32_e32 v9, vcc, 0, v10, vcc
	v_add_co_u32_e32 v2, vcc, v2, v8
	v_addc_co_u32_e32 v3, vcc, v3, v9, vcc
	v_mul_lo_u32 v8, s26, v3
	v_mul_hi_u32 v9, s26, v2
	v_add_u32_e32 v8, v9, v8
	v_mul_lo_u32 v9, s27, v2
	v_add_u32_e32 v8, v8, v9
	v_mul_lo_u32 v10, s26, v2
	v_mul_hi_u32 v11, v3, v10
	v_mul_lo_u32 v12, v3, v10
	v_mul_lo_u32 v14, v2, v8
	v_mul_hi_u32 v10, v2, v10
	v_mul_hi_u32 v13, v2, v8
	v_add_co_u32_e32 v10, vcc, v10, v14
	v_addc_co_u32_e32 v13, vcc, 0, v13, vcc
	v_add_co_u32_e32 v10, vcc, v10, v12
	v_mul_hi_u32 v9, v3, v8
	v_addc_co_u32_e32 v10, vcc, v13, v11, vcc
	v_addc_co_u32_e32 v9, vcc, 0, v9, vcc
	v_mul_lo_u32 v8, v3, v8
	v_add_co_u32_e32 v8, vcc, v10, v8
	v_addc_co_u32_e32 v9, vcc, 0, v9, vcc
	v_add_co_u32_e32 v8, vcc, v2, v8
	v_addc_co_u32_e32 v9, vcc, v3, v9, vcc
	v_ashrrev_i32_e32 v10, 31, v5
	v_add_co_u32_e32 v2, vcc, v4, v10
	v_addc_co_u32_e32 v3, vcc, v5, v10, vcc
	v_xor_b32_e32 v12, v2, v10
	v_xor_b32_e32 v11, v3, v10
	v_mad_u64_u32 v[2:3], s[26:27], v12, v9, 0
	v_mul_hi_u32 v4, v12, v8
	v_add_co_u32_e32 v13, vcc, v4, v2
	v_addc_co_u32_e32 v14, vcc, 0, v3, vcc
	v_mad_u64_u32 v[4:5], s[26:27], v11, v8, 0
	v_add_co_u32_e32 v4, vcc, v13, v4
	v_mad_u64_u32 v[2:3], s[26:27], v11, v9, 0
	v_addc_co_u32_e32 v4, vcc, v14, v5, vcc
	v_addc_co_u32_e32 v3, vcc, 0, v3, vcc
	v_add_co_u32_e32 v4, vcc, v4, v2
	v_addc_co_u32_e32 v5, vcc, 0, v3, vcc
	v_mul_lo_u32 v8, s37, v4
	v_mul_lo_u32 v9, s36, v5
	v_mad_u64_u32 v[2:3], s[26:27], s36, v4, 0
	v_add3_u32 v3, v3, v9, v8
	v_sub_u32_e32 v8, v11, v3
	v_mov_b32_e32 v9, s37
	v_sub_co_u32_e32 v2, vcc, v12, v2
	v_subb_co_u32_e64 v8, s[26:27], v8, v9, vcc
	v_subrev_co_u32_e64 v9, s[26:27], s36, v2
	v_subbrev_co_u32_e64 v8, s[26:27], 0, v8, s[26:27]
	v_cmp_le_u32_e64 s[26:27], s37, v8
	v_cndmask_b32_e64 v12, 0, -1, s[26:27]
	v_cmp_le_u32_e64 s[26:27], s36, v9
	v_cndmask_b32_e64 v9, 0, -1, s[26:27]
	v_cmp_eq_u32_e64 s[26:27], s37, v8
	v_cndmask_b32_e64 v8, v12, v9, s[26:27]
	v_add_co_u32_e64 v9, s[26:27], 2, v4
	v_subb_co_u32_e32 v3, vcc, v11, v3, vcc
	v_addc_co_u32_e64 v12, s[26:27], 0, v5, s[26:27]
	v_cmp_le_u32_e32 vcc, s37, v3
	v_add_co_u32_e64 v13, s[26:27], 1, v4
	v_cndmask_b32_e64 v11, 0, -1, vcc
	v_cmp_le_u32_e32 vcc, s36, v2
	v_addc_co_u32_e64 v14, s[26:27], 0, v5, s[26:27]
	v_cndmask_b32_e64 v2, 0, -1, vcc
	v_cmp_eq_u32_e32 vcc, s37, v3
	v_cmp_ne_u32_e64 s[26:27], 0, v8
	v_cndmask_b32_e32 v2, v11, v2, vcc
	v_cndmask_b32_e64 v8, v14, v12, s[26:27]
	v_cmp_ne_u32_e32 vcc, 0, v2
	v_cndmask_b32_e64 v3, v13, v9, s[26:27]
	v_cndmask_b32_e32 v2, v5, v8, vcc
	v_cndmask_b32_e32 v3, v4, v3, vcc
	v_xor_b32_e32 v4, s35, v10
	v_xor_b32_e32 v5, s34, v10
	;; [unrolled: 1-line block ×4, first 2 shown]
	v_sub_co_u32_e32 v2, vcc, v2, v5
	v_subb_co_u32_e32 v3, vcc, v8, v4, vcc
                                        ; implicit-def: $vgpr4
.LBB6_50:                               ;   in Loop: Header=BB6_47 Depth=1
	s_andn2_saveexec_b64 s[26:27], s[30:31]
	s_cbranch_execz .LBB6_52
; %bb.51:                               ;   in Loop: Header=BB6_47 Depth=1
	v_cvt_f32_u32_e32 v2, s72
	s_sub_i32 vcc_lo, 0, s72
	v_rcp_iflag_f32_e32 v2, v2
	v_mul_f32_e32 v2, 0x4f7ffffe, v2
	v_cvt_u32_f32_e32 v2, v2
	v_mul_lo_u32 v3, vcc_lo, v2
	v_mul_hi_u32 v3, v2, v3
	v_add_u32_e32 v2, v2, v3
	v_mul_hi_u32 v2, v4, v2
	v_mul_lo_u32 v3, v2, s72
	v_sub_u32_e32 v3, v4, v3
	v_add_u32_e32 v5, 1, v2
	v_subrev_u32_e32 v4, s72, v3
	v_cmp_le_u32_e32 vcc, s72, v3
	v_cndmask_b32_e32 v3, v3, v4, vcc
	v_cndmask_b32_e32 v2, v2, v5, vcc
	v_add_u32_e32 v4, 1, v2
	v_cmp_le_u32_e32 vcc, s72, v3
	v_cndmask_b32_e32 v2, v2, v4, vcc
	v_mov_b32_e32 v3, v52
.LBB6_52:                               ;   in Loop: Header=BB6_47 Depth=1
	s_or_b64 exec, exec, s[26:27]
	v_add_co_u32_e32 v2, vcc, 3, v2
	v_addc_co_u32_e32 v3, vcc, 0, v3, vcc
	v_and_b32_e32 v2, -4, v2
	v_accvgpr_write_b32 a31, v3
	v_accvgpr_write_b32 a30, v2
.LBB6_53:                               ;   in Loop: Header=BB6_47 Depth=1
	s_or_b64 exec, exec, s[28:29]
	v_accvgpr_read_b32 v8, a30
	v_accvgpr_read_b32 v9, a31
	v_mul_lo_u32 v2, v9, s79
	v_mul_lo_u32 v3, v8, s80
	v_mad_u64_u32 v[4:5], s[26:27], v8, s79, 0
	v_add3_u32 v5, v5, v3, v2
	v_accvgpr_read_b32 v2, a4
	v_accvgpr_read_b32 v3, a5
	v_add_co_u32_e32 v2, vcc, v24, v2
	v_addc_co_u32_e32 v3, vcc, v25, v3, vcc
	v_accvgpr_write_b32 a35, v3
	v_accvgpr_write_b32 a34, v2
	v_accvgpr_read_b32 v2, a32
	v_accvgpr_read_b32 v3, a33
	v_sub_co_u32_e32 v2, vcc, v2, v4
	v_subb_co_u32_e32 v3, vcc, v3, v5, vcc
	v_cmp_lt_i64_e32 vcc, v[8:9], v[2:3]
	v_cndmask_b32_e32 v3, v2, v8, vcc
	v_max_i32_e32 v16, 0, v3
	v_add_u32_e32 v2, 31, v16
	v_lshrrev_b32_e32 v2, 1, v2
	v_and_b32_e32 v2, 0x3ffffff0, v2
	v_max_i32_e32 v2, s81, v2
	v_cmp_lt_i32_e32 vcc, 0, v3
	v_mov_b32_e32 v3, 0
	v_mov_b32_e32 v8, 0
	s_and_b64 s[26:27], s[58:59], vcc
	s_mov_b64 s[28:29], exec
	v_accvgpr_write_b32 a29, v25
	s_and_b64 s[26:27], s[28:29], s[26:27]
	v_accvgpr_write_b32 a3, v58
	v_accvgpr_write_b32 a19, v59
	;; [unrolled: 1-line block ×3, first 2 shown]
	s_mov_b64 exec, s[26:27]
	s_cbranch_execz .LBB6_195
; %bb.54:                               ;   in Loop: Header=BB6_47 Depth=1
	s_mov_b32 s66, 1
	s_mov_b64 s[34:35], -1
	s_mov_b64 s[30:31], 0
	v_mov_b32_e32 v8, 0
	v_lshlrev_b64 v[10:11], 2, v[4:5]
	s_branch .LBB6_57
.LBB6_55:                               ;   in Loop: Header=BB6_57 Depth=2
	s_or_b64 exec, exec, vcc
	v_add_co_u32_e32 v32, vcc, 2, v32
	v_addc_co_u32_e32 v33, vcc, 0, v33, vcc
	flat_store_dwordx2 v[34:35], v[32:33]
.LBB6_56:                               ;   in Loop: Header=BB6_57 Depth=2
	s_or_b64 exec, exec, s[26:27]
	v_add_u32_e32 v8, v2, v8
	v_cmp_ge_i32_e32 vcc, v8, v16
	s_xor_b64 s[26:27], s[34:35], -1
	s_or_b64 s[26:27], s[26:27], vcc
	s_and_b64 s[26:27], exec, s[26:27]
	s_or_b64 s[30:31], s[26:27], s[30:31]
	s_mov_b64 s[34:35], 0
	v_mov_b32_e32 v3, s66
	s_mov_b32 s66, 2
	s_andn2_b64 exec, exec, s[30:31]
	s_cbranch_execz .LBB6_194
.LBB6_57:                               ;   Parent Loop BB6_47 Depth=1
                                        ; =>  This Loop Header: Depth=2
                                        ;       Child Loop BB6_65 Depth 3
                                        ;       Child Loop BB6_89 Depth 3
	;; [unrolled: 1-line block ×9, first 2 shown]
	s_and_saveexec_b64 s[26:27], s[4:5]
	s_cbranch_execz .LBB6_59
; %bb.58:                               ;   in Loop: Header=BB6_57 Depth=2
	s_trap 2
	ds_read_b64 v[4:5], v0
	v_accvgpr_read_b32 v12, a34
	v_accvgpr_read_b32 v13, a35
	v_lshlrev_b64 v[12:13], 2, v[12:13]
	v_ashrrev_i32_e32 v9, 31, v8
	s_waitcnt lgkmcnt(0)
	v_add_co_u32_e32 v3, vcc, v4, v12
	v_addc_co_u32_e32 v4, vcc, v5, v13, vcc
	v_add_co_u32_e32 v3, vcc, v3, v10
	v_addc_co_u32_e32 v12, vcc, v4, v11, vcc
	v_lshlrev_b64 v[4:5], 2, v[8:9]
	v_add_co_u32_e32 v4, vcc, v3, v4
	v_addc_co_u32_e32 v5, vcc, v12, v5, vcc
	v_mov_b32_e32 v53, v52
	ds_write_b64 v0, v[4:5]
	ds_write_b64 v0, v[52:53]
.LBB6_59:                               ;   in Loop: Header=BB6_57 Depth=2
	s_or_b64 exec, exec, s[26:27]
	v_and_b32_e32 v3, 8, v62
	v_cmp_ne_u32_e32 vcc, 0, v3
	s_mov_b64 s[36:37], -1
	s_and_saveexec_b64 s[26:27], vcc
	s_cbranch_execz .LBB6_71
; %bb.60:                               ;   in Loop: Header=BB6_57 Depth=2
	v_add_co_u32_e32 v12, vcc, 8, v50
	v_addc_co_u32_e32 v13, vcc, 0, v51, vcc
	v_add_co_u32_e32 v4, vcc, 2, v32
	v_addc_co_u32_e32 v5, vcc, 0, v33, vcc
	v_cmp_lt_u64_e32 vcc, v[12:13], v[4:5]
	v_mov_b32_e32 v3, 1
	s_and_saveexec_b64 s[36:37], vcc
	s_cbranch_execz .LBB6_70
; %bb.61:                               ;   in Loop: Header=BB6_57 Depth=2
	s_mov_b64 s[38:39], 0
	v_mov_b32_e32 v3, 0
                                        ; implicit-def: $sgpr40_sgpr41
	s_branch .LBB6_65
.LBB6_62:                               ;   in Loop: Header=BB6_65 Depth=3
	s_or_b64 exec, exec, s[62:63]
	v_mov_b32_e32 v9, 0
	s_orn2_b64 s[60:61], s[60:61], exec
.LBB6_63:                               ;   in Loop: Header=BB6_65 Depth=3
	s_or_b64 exec, exec, s[44:45]
	s_andn2_b64 vcc, s[40:41], exec
	s_and_b64 s[40:41], s[60:61], exec
	s_or_b64 s[40:41], vcc, s[40:41]
	v_mov_b32_e32 v3, v9
.LBB6_64:                               ;   in Loop: Header=BB6_65 Depth=3
	s_or_b64 exec, exec, s[42:43]
	s_waitcnt vmcnt(0) lgkmcnt(0)
	v_add_co_u32_e32 v12, vcc, 8, v50
	v_addc_co_u32_e32 v13, vcc, 0, v51, vcc
	v_cmp_ge_u64_e32 vcc, v[12:13], v[4:5]
	s_xor_b64 s[42:43], s[40:41], -1
	s_or_b64 vcc, s[42:43], vcc
	s_and_b64 vcc, exec, vcc
	s_or_b64 s[38:39], vcc, s[38:39]
	s_andn2_b64 exec, exec, s[38:39]
	s_cbranch_execz .LBB6_69
.LBB6_65:                               ;   Parent Loop BB6_47 Depth=1
                                        ;     Parent Loop BB6_57 Depth=2
                                        ; =>    This Inner Loop Header: Depth=3
	s_sleep 1
	flat_load_dwordx2 v[50:51], v[34:35] glc
	v_and_b32_e32 v9, 64, v62
	v_cmp_eq_u32_e32 vcc, 0, v9
	s_andn2_b64 s[40:41], s[40:41], exec
	s_and_saveexec_b64 s[42:43], vcc
	s_cbranch_execz .LBB6_64
; %bb.66:                               ;   in Loop: Header=BB6_65 Depth=3
	v_add_u32_e32 v9, 1, v3
	v_cmp_lt_i32_e32 vcc, s85, v3
	s_mov_b64 s[60:61], -1
	s_and_saveexec_b64 s[44:45], vcc
	s_cbranch_execz .LBB6_63
; %bb.67:                               ;   in Loop: Header=BB6_65 Depth=3
	s_trap 2
	ds_read_b64 v[12:13], v0
	s_waitcnt vmcnt(0) lgkmcnt(0)
	flat_load_dword v3, v[12:13] glc
	s_waitcnt vmcnt(0) lgkmcnt(0)
	buffer_invl2
	buffer_wbinvl1_vol
	v_cmp_ne_u32_e32 vcc, 0, v3
	s_and_saveexec_b64 s[62:63], vcc
	s_cbranch_execz .LBB6_62
; %bb.68:                               ;   in Loop: Header=BB6_65 Depth=3
	v_or_b32_e32 v62, 64, v62
	s_xor_b64 s[60:61], exec, -1
	ds_write_b32 v0, v3
	s_trap 2
	s_branch .LBB6_62
.LBB6_69:                               ;   in Loop: Header=BB6_57 Depth=2
	s_or_b64 exec, exec, s[38:39]
	v_and_b32_e32 v3, 8, v62
.LBB6_70:                               ;   in Loop: Header=BB6_57 Depth=2
	s_or_b64 exec, exec, s[36:37]
	v_cmp_eq_u32_e32 vcc, 0, v3
	s_orn2_b64 s[36:37], vcc, exec
	;;#ASMSTART
	s_wakeup
	;;#ASMEND
.LBB6_71:                               ;   in Loop: Header=BB6_57 Depth=2
	s_or_b64 exec, exec, s[26:27]
	v_sub_u32_e32 v3, v16, v8
	s_xor_b64 s[26:27], s[36:37], -1
	v_min_i32_e32 v2, v2, v3
	s_and_saveexec_b64 s[36:37], s[26:27]
	s_cbranch_execz .LBB6_81
; %bb.72:                               ;   in Loop: Header=BB6_57 Depth=2
	v_and_b32_e32 v3, 0x100, v62
	v_cmp_ne_u32_e32 vcc, 0, v3
	v_and_b32_e32 v9, 7, v32
	s_mov_b64 s[26:27], -1
                                        ; implicit-def: $vgpr4_vgpr5
	s_and_saveexec_b64 s[38:39], vcc
	s_cbranch_execz .LBB6_76
; %bb.73:                               ;   in Loop: Header=BB6_57 Depth=2
	v_accvgpr_read_b32 v4, a24
	v_accvgpr_read_b32 v5, a25
	v_mad_u64_u32 v[12:13], s[26:27], v9, 24, v[4:5]
	flat_load_dword v14, v[12:13]
	v_ashrrev_i32_e32 v3, 31, v2
	v_lshlrev_b64 v[4:5], 2, v[2:3]
	flat_store_dwordx2 v[12:13], v[4:5] offset:8
                                        ; implicit-def: $vgpr4_vgpr5
	s_waitcnt vmcnt(0) lgkmcnt(0)
	v_cmp_ne_u32_e32 vcc, 1, v14
	v_cmp_eq_u32_e64 s[26:27], 1, v14
	s_and_saveexec_b64 s[40:41], s[26:27]
	s_cbranch_execz .LBB6_75
; %bb.74:                               ;   in Loop: Header=BB6_57 Depth=2
	flat_load_dword v4, v[12:13] offset:4 glc
	s_waitcnt vmcnt(0) lgkmcnt(0)
	v_ashrrev_i32_e32 v5, 31, v4
	v_lshrrev_b64 v[4:5], 2, v[4:5]
.LBB6_75:                               ;   in Loop: Header=BB6_57 Depth=2
	s_or_b64 exec, exec, s[40:41]
	s_orn2_b64 s[26:27], vcc, exec
.LBB6_76:                               ;   in Loop: Header=BB6_57 Depth=2
	s_or_b64 exec, exec, s[38:39]
	s_and_saveexec_b64 vcc, s[26:27]
; %bb.77:                               ;   in Loop: Header=BB6_57 Depth=2
	v_mad_i64_i32 v[4:5], s[26:27], v9, v30, 0
; %bb.78:                               ;   in Loop: Header=BB6_57 Depth=2
	s_or_b64 exec, exec, vcc
	v_lshlrev_b64 v[4:5], 2, v[4:5]
	v_add_co_u32_e32 v4, vcc, v36, v4
	v_addc_co_u32_e32 v5, vcc, v37, v5, vcc
	v_and_b32_e32 v3, 0x2000, v62
	v_cmp_ne_u32_e32 vcc, 0, v3
	ds_write_b64 v0, v[4:5] offset:784
	s_and_saveexec_b64 s[26:27], vcc
	s_cbranch_execz .LBB6_80
; %bb.79:                               ;   in Loop: Header=BB6_57 Depth=2
	ds_read_b64 v[4:5], v0 offset:584
	s_waitcnt lgkmcnt(0)
	v_add_co_u32_e32 v4, vcc, 1, v4
	v_addc_co_u32_e32 v5, vcc, 0, v5, vcc
	ds_write_b64 v0, v[4:5] offset:584
.LBB6_80:                               ;   in Loop: Header=BB6_57 Depth=2
	s_or_b64 exec, exec, s[26:27]
	v_add_co_u32_e32 v32, vcc, 2, v32
	v_addc_co_u32_e32 v33, vcc, 0, v33, vcc
.LBB6_81:                               ;   in Loop: Header=BB6_57 Depth=2
	s_or_b64 exec, exec, s[36:37]
	s_and_saveexec_b64 s[26:27], s[10:11]
	s_cbranch_execz .LBB6_100
; %bb.82:                               ;   in Loop: Header=BB6_57 Depth=2
	s_and_saveexec_b64 vcc, s[52:53]
	s_xor_b64 s[36:37], exec, vcc
	s_cbranch_execz .LBB6_97
; %bb.83:                               ;   in Loop: Header=BB6_57 Depth=2
	s_and_saveexec_b64 s[38:39], s[16:17]
	s_cbranch_execz .LBB6_96
; %bb.84:                               ;   in Loop: Header=BB6_57 Depth=2
	s_mov_b64 s[42:43], exec
	v_mbcnt_lo_u32_b32 v3, s42, 0
	v_mbcnt_hi_u32_b32 v3, s43, v3
	v_cmp_eq_u32_e32 vcc, 0, v3
	s_waitcnt vmcnt(0) lgkmcnt(0)
	buffer_wbinvl1_vol
	s_and_saveexec_b64 s[40:41], vcc
	s_cbranch_execz .LBB6_86
; %bb.85:                               ;   in Loop: Header=BB6_57 Depth=2
	s_bcnt1_i32_b64 vcc_lo, s[42:43]
	v_mov_b32_e32 v4, vcc_lo
	v_mov_b32_e32 v5, v52
	ds_add_u64 v0, v[4:5]
	s_trap 2
.LBB6_86:                               ;   in Loop: Header=BB6_57 Depth=2
	s_or_b64 exec, exec, s[40:41]
	s_trap 2
	ds_read_b64 v[4:5], v0
	v_add_co_u32_e32 v48, vcc, v48, v54
	v_addc_co_u32_e32 v49, vcc, 0, v49, vcc
	s_waitcnt lgkmcnt(0)
	v_cmp_lt_u64_e32 vcc, v[4:5], v[48:49]
	s_and_saveexec_b64 s[40:41], vcc
	s_cbranch_execz .LBB6_95
; %bb.87:                               ;   in Loop: Header=BB6_57 Depth=2
	s_mov_b32 s67, 0
	s_mov_b64 s[42:43], 0
                                        ; implicit-def: $sgpr44_sgpr45
                                        ; implicit-def: $sgpr60_sgpr61
	s_branch .LBB6_89
.LBB6_88:                               ;   in Loop: Header=BB6_89 Depth=3
	s_or_b64 exec, exec, s[64:65]
	s_and_b64 vcc, exec, vcc
	s_or_b64 s[42:43], vcc, s[42:43]
	s_andn2_b64 vcc, s[44:45], exec
	s_and_b64 s[44:45], s[60:61], exec
	s_or_b64 s[44:45], vcc, s[44:45]
	s_andn2_b64 exec, exec, s[42:43]
	s_cbranch_execz .LBB6_93
.LBB6_89:                               ;   Parent Loop BB6_47 Depth=1
                                        ;     Parent Loop BB6_57 Depth=2
                                        ; =>    This Inner Loop Header: Depth=3
	s_add_i32 s67, s67, 1
	s_cmpk_lg_i32 s67, 0x2710
	s_cselect_b64 s[62:63], -1, 0
	s_and_b64 vcc, exec, s[62:63]
                                        ; implicit-def: $sgpr64_sgpr65
	s_cbranch_vccnz .LBB6_91
; %bb.90:                               ;   in Loop: Header=BB6_89 Depth=3
	s_trap 2
	ds_read_b64 v[4:5], v0
	s_andn2_b64 s[62:63], s[62:63], exec
	s_mov_b32 s67, 0
	s_mov_b64 s[64:65], -1
	s_waitcnt lgkmcnt(0)
	flat_load_dword v3, v[4:5] glc
	s_waitcnt vmcnt(0) lgkmcnt(0)
	buffer_invl2
	buffer_wbinvl1_vol
	v_cmp_eq_u32_e32 vcc, 0, v3
	s_and_b64 vcc, vcc, exec
	s_or_b64 s[62:63], s[62:63], vcc
.LBB6_91:                               ;   in Loop: Header=BB6_89 Depth=3
	s_andn2_b64 s[60:61], s[60:61], exec
	s_and_b64 s[64:65], s[64:65], exec
	s_mov_b64 vcc, -1
	s_or_b64 s[60:61], s[60:61], s[64:65]
	s_and_saveexec_b64 s[64:65], s[62:63]
	s_cbranch_execz .LBB6_88
; %bb.92:                               ;   in Loop: Header=BB6_89 Depth=3
	s_sleep 1
	s_trap 2
	ds_read_b64 v[4:5], v0
	s_andn2_b64 s[60:61], s[60:61], exec
	s_waitcnt lgkmcnt(0)
	v_cmp_ge_u64_e32 vcc, v[4:5], v[48:49]
	s_orn2_b64 vcc, vcc, exec
	s_branch .LBB6_88
.LBB6_93:                               ;   in Loop: Header=BB6_57 Depth=2
	s_or_b64 exec, exec, s[42:43]
	s_and_saveexec_b64 vcc, s[44:45]
	s_xor_b64 vcc, exec, vcc
	s_cbranch_execz .LBB6_95
; %bb.94:                               ;   in Loop: Header=BB6_57 Depth=2
	ds_write_b32 v0, v57
	s_trap 2
.LBB6_95:                               ;   in Loop: Header=BB6_57 Depth=2
	s_or_b64 exec, exec, s[40:41]
	;;#ASMSTART
	s_wakeup
	;;#ASMEND
.LBB6_96:                               ;   in Loop: Header=BB6_57 Depth=2
	s_or_b64 exec, exec, s[38:39]
.LBB6_97:                               ;   in Loop: Header=BB6_57 Depth=2
	s_andn2_saveexec_b64 vcc, s[36:37]
	s_cbranch_execz .LBB6_99
; %bb.98:                               ;   in Loop: Header=BB6_57 Depth=2
	s_waitcnt vmcnt(0) lgkmcnt(0)
	buffer_wbinvl1_vol
	s_barrier
.LBB6_99:                               ;   in Loop: Header=BB6_57 Depth=2
	s_or_b64 exec, exec, vcc
.LBB6_100:                              ;   in Loop: Header=BB6_57 Depth=2
	s_or_b64 exec, exec, s[26:27]
	s_trap 2
	ds_read_b32 v3, v0
	v_and_b32_e32 v4, 0x4000, v62
	v_cmp_ne_u32_e32 vcc, 0, v4
	s_xor_b64 s[26:27], s[6:7], -1
	s_and_b64 vcc, s[26:27], vcc
	s_and_saveexec_b64 s[26:27], vcc
	s_cbranch_execz .LBB6_119
; %bb.101:                              ;   in Loop: Header=BB6_57 Depth=2
	s_and_saveexec_b64 vcc, s[52:53]
	s_xor_b64 s[36:37], exec, vcc
	s_cbranch_execz .LBB6_116
; %bb.102:                              ;   in Loop: Header=BB6_57 Depth=2
	s_and_saveexec_b64 s[38:39], s[16:17]
	s_cbranch_execz .LBB6_115
; %bb.103:                              ;   in Loop: Header=BB6_57 Depth=2
	s_mov_b64 s[42:43], exec
	v_mbcnt_lo_u32_b32 v4, s42, 0
	v_mbcnt_hi_u32_b32 v4, s43, v4
	v_cmp_eq_u32_e32 vcc, 0, v4
	s_waitcnt vmcnt(0) lgkmcnt(0)
	buffer_wbinvl1_vol
	s_and_saveexec_b64 s[40:41], vcc
	s_cbranch_execz .LBB6_105
; %bb.104:                              ;   in Loop: Header=BB6_57 Depth=2
	s_bcnt1_i32_b64 vcc_lo, s[42:43]
	v_mov_b32_e32 v4, vcc_lo
	v_mov_b32_e32 v5, v52
	ds_add_u64 v0, v[4:5]
	s_trap 2
.LBB6_105:                              ;   in Loop: Header=BB6_57 Depth=2
	s_or_b64 exec, exec, s[40:41]
	s_trap 2
	ds_read_b64 v[4:5], v0
	v_add_co_u32_e32 v48, vcc, v48, v54
	v_addc_co_u32_e32 v49, vcc, 0, v49, vcc
	s_waitcnt lgkmcnt(0)
	v_cmp_lt_u64_e32 vcc, v[4:5], v[48:49]
	s_and_saveexec_b64 s[40:41], vcc
	s_cbranch_execz .LBB6_114
; %bb.106:                              ;   in Loop: Header=BB6_57 Depth=2
	s_mov_b32 s67, 0
	s_mov_b64 s[42:43], 0
                                        ; implicit-def: $sgpr44_sgpr45
                                        ; implicit-def: $sgpr60_sgpr61
	s_branch .LBB6_108
.LBB6_107:                              ;   in Loop: Header=BB6_108 Depth=3
	s_or_b64 exec, exec, s[64:65]
	s_and_b64 vcc, exec, vcc
	s_or_b64 s[42:43], vcc, s[42:43]
	s_andn2_b64 vcc, s[44:45], exec
	s_and_b64 s[44:45], s[60:61], exec
	s_or_b64 s[44:45], vcc, s[44:45]
	s_andn2_b64 exec, exec, s[42:43]
	s_cbranch_execz .LBB6_112
.LBB6_108:                              ;   Parent Loop BB6_47 Depth=1
                                        ;     Parent Loop BB6_57 Depth=2
                                        ; =>    This Inner Loop Header: Depth=3
	s_add_i32 s67, s67, 1
	s_cmpk_lg_i32 s67, 0x2710
	s_cselect_b64 s[62:63], -1, 0
	s_and_b64 vcc, exec, s[62:63]
                                        ; implicit-def: $sgpr64_sgpr65
	s_cbranch_vccnz .LBB6_110
; %bb.109:                              ;   in Loop: Header=BB6_108 Depth=3
	s_trap 2
	ds_read_b64 v[4:5], v0
	s_andn2_b64 s[62:63], s[62:63], exec
	s_mov_b32 s67, 0
	s_mov_b64 s[64:65], -1
	s_waitcnt lgkmcnt(0)
	flat_load_dword v4, v[4:5] glc
	s_waitcnt vmcnt(0) lgkmcnt(0)
	buffer_invl2
	buffer_wbinvl1_vol
	v_cmp_eq_u32_e32 vcc, 0, v4
	s_and_b64 vcc, vcc, exec
	s_or_b64 s[62:63], s[62:63], vcc
.LBB6_110:                              ;   in Loop: Header=BB6_108 Depth=3
	s_andn2_b64 s[60:61], s[60:61], exec
	s_and_b64 s[64:65], s[64:65], exec
	s_mov_b64 vcc, -1
	s_or_b64 s[60:61], s[60:61], s[64:65]
	s_and_saveexec_b64 s[64:65], s[62:63]
	s_cbranch_execz .LBB6_107
; %bb.111:                              ;   in Loop: Header=BB6_108 Depth=3
	s_sleep 1
	s_trap 2
	ds_read_b64 v[4:5], v0
	s_andn2_b64 s[60:61], s[60:61], exec
	s_waitcnt lgkmcnt(0)
	v_cmp_ge_u64_e32 vcc, v[4:5], v[48:49]
	s_orn2_b64 vcc, vcc, exec
	s_branch .LBB6_107
.LBB6_112:                              ;   in Loop: Header=BB6_57 Depth=2
	s_or_b64 exec, exec, s[42:43]
	s_and_saveexec_b64 vcc, s[44:45]
	s_xor_b64 vcc, exec, vcc
	s_cbranch_execz .LBB6_114
; %bb.113:                              ;   in Loop: Header=BB6_57 Depth=2
	ds_write_b32 v0, v57
	s_trap 2
.LBB6_114:                              ;   in Loop: Header=BB6_57 Depth=2
	s_or_b64 exec, exec, s[40:41]
	;;#ASMSTART
	s_wakeup
	;;#ASMEND
.LBB6_115:                              ;   in Loop: Header=BB6_57 Depth=2
	s_or_b64 exec, exec, s[38:39]
.LBB6_116:                              ;   in Loop: Header=BB6_57 Depth=2
	s_andn2_saveexec_b64 vcc, s[36:37]
	s_cbranch_execz .LBB6_118
; %bb.117:                              ;   in Loop: Header=BB6_57 Depth=2
	s_waitcnt vmcnt(0) lgkmcnt(0)
	buffer_wbinvl1_vol
	s_barrier
.LBB6_118:                              ;   in Loop: Header=BB6_57 Depth=2
	s_or_b64 exec, exec, vcc
.LBB6_119:                              ;   in Loop: Header=BB6_57 Depth=2
	s_or_b64 exec, exec, s[26:27]
	s_trap 2
	ds_read_b64 v[4:5], v0
	v_mov_b32_e32 v9, 0
	s_waitcnt lgkmcnt(0)
	v_readfirstlane_b32 s26, v4
	v_readfirstlane_b32 s27, v5
	s_cmp_eq_u64 s[26:27], 0
	s_cselect_b64 s[26:27], -1, 0
	s_or_b64 s[26:27], s[26:27], s[26:27]
	s_and_b64 vcc, exec, s[26:27]
	s_cbranch_vccnz .LBB6_126
; %bb.120:                              ;   in Loop: Header=BB6_57 Depth=2
	s_mov_b64 s[26:27], -1
	s_and_saveexec_b64 s[36:37], s[18:19]
	s_cbranch_execz .LBB6_122
; %bb.121:                              ;   in Loop: Header=BB6_57 Depth=2
	ds_read_b32 v4, v0 offset:720
	s_waitcnt lgkmcnt(0)
	v_and_b32_e32 v4, 15, v4
	v_cmp_eq_u32_e32 vcc, 0, v4
	s_orn2_b64 s[26:27], vcc, exec
.LBB6_122:                              ;   in Loop: Header=BB6_57 Depth=2
	s_or_b64 exec, exec, s[36:37]
	s_and_saveexec_b64 s[36:37], s[20:21]
	s_cbranch_execz .LBB6_124
; %bb.123:                              ;   in Loop: Header=BB6_57 Depth=2
	ds_read_b32 v4, v0 offset:784
	s_waitcnt lgkmcnt(0)
	v_and_b32_e32 v4, 15, v4
	v_cmp_eq_u32_e32 vcc, 0, v4
	s_and_b64 vcc, s[26:27], vcc
	s_andn2_b64 s[26:27], s[26:27], exec
	s_and_b64 vcc, vcc, exec
	s_or_b64 s[26:27], s[26:27], vcc
.LBB6_124:                              ;   in Loop: Header=BB6_57 Depth=2
	s_or_b64 exec, exec, s[36:37]
	v_cmp_eq_u32_e32 vcc, 0, v3
	s_xor_b64 s[26:27], s[26:27], -1
	v_cndmask_b32_e32 v9, 0, v2, vcc
	v_cndmask_b32_e64 v3, 0, 1, s[26:27]
	v_mov_b32_e32 v13, 0
	v_lshlrev_b32_e32 v17, 2, v9
	s_mov_b64 s[38:39], -1
	;;#ASMSTART
	;;#ASMEND
	v_cmp_ne_u32_e32 vcc, 0, v3
	s_cbranch_vccz .LBB6_132
; %bb.125:                              ;   in Loop: Header=BB6_57 Depth=2
	v_mov_b32_e32 v18, v58
	v_mov_b32_e32 v3, v59
	s_and_saveexec_b64 s[26:27], s[38:39]
	s_cbranch_execnz .LBB6_145
	s_branch .LBB6_154
.LBB6_126:                              ;   in Loop: Header=BB6_57 Depth=2
	s_and_saveexec_b64 s[26:27], s[10:11]
	s_cbranch_execnz .LBB6_155
.LBB6_127:                              ;   in Loop: Header=BB6_57 Depth=2
	s_or_b64 exec, exec, s[26:27]
                                        ; implicit-def: $vgpr3
	s_and_saveexec_b64 s[26:27], s[22:23]
	s_xor_b64 s[36:37], exec, s[26:27]
	s_cbranch_execz .LBB6_173
.LBB6_128:                              ;   in Loop: Header=BB6_57 Depth=2
	v_and_b32_e32 v4, 16, v62
	v_cmp_lt_i32_e32 vcc, 0, v9
	v_cmp_ne_u32_e64 s[26:27], 0, v4
	v_and_b32_e32 v3, 16, v62
	s_and_b64 vcc, s[26:27], vcc
	s_and_saveexec_b64 s[26:27], vcc
	s_cbranch_execz .LBB6_130
; %bb.129:                              ;   in Loop: Header=BB6_57 Depth=2
	v_mov_b32_e32 v3, 1
	s_waitcnt vmcnt(0) lgkmcnt(0)
	buffer_wbinvl1_vol
.LBB6_130:                              ;   in Loop: Header=BB6_57 Depth=2
	s_or_b64 exec, exec, s[26:27]
	s_andn2_saveexec_b64 s[26:27], s[36:37]
	s_cbranch_execnz .LBB6_174
.LBB6_131:                              ;   in Loop: Header=BB6_57 Depth=2
	s_or_b64 exec, exec, s[26:27]
	v_cmp_ne_u32_e32 vcc, 0, v3
	s_and_saveexec_b64 s[26:27], vcc
	s_cbranch_execz .LBB6_56
	s_branch .LBB6_192
.LBB6_132:                              ;   in Loop: Header=BB6_57 Depth=2
	v_ashrrev_i32_e32 v3, 31, v17
	v_lshrrev_b32_e32 v3, 20, v3
	v_add_u32_e32 v3, v17, v3
	v_ashrrev_i32_e32 v3, 12, v3
	v_sub_u32_e32 v15, v3, v59
	v_cmp_lt_i32_e32 vcc, 0, v15
	s_and_saveexec_b64 s[26:27], vcc
	s_cbranch_execz .LBB6_136
; %bb.133:                              ;   in Loop: Header=BB6_57 Depth=2
	s_trap 2
	ds_read_b64 v[4:5], v0
	s_mov_b64 s[36:37], 0
	s_waitcnt lgkmcnt(0)
	v_pk_mov_b32 v[12:13], v[4:5], v[4:5] op_sel:[0,1]
.LBB6_134:                              ;   Parent Loop BB6_47 Depth=1
                                        ;     Parent Loop BB6_57 Depth=2
                                        ; =>    This Inner Loop Header: Depth=3
	s_waitcnt vmcnt(0)
	v_add_co_u32_e32 v26, vcc, v20, v12
	v_addc_co_u32_e32 v27, vcc, v23, v13, vcc
	global_load_dwordx4 v[18:21], v[26:27], off glc slc
	global_load_dwordx4 v[22:25], v[26:27], off offset:1024 glc slc
	global_load_dwordx4 v[56:59], v[26:27], off offset:2048 glc slc
	;; [unrolled: 1-line block ×3, first 2 shown]
	s_nop 0
	buffer_load_dword v26, off, s[0:3], s33 offset:92 ; 4-byte Folded Reload
	buffer_load_dword v27, off, s[0:3], s33 offset:96 ; 4-byte Folded Reload
	v_sub_u32_e32 v15, v15, v54
	s_waitcnt vmcnt(1)
	v_add_co_u32_e32 v26, vcc, v26, v4
	s_waitcnt vmcnt(0)
	v_addc_co_u32_e32 v27, vcc, v7, v5, vcc
	global_store_dwordx4 v[26:27], v[18:21], off glc slc
	buffer_load_dword v20, off, s[0:3], s33 offset:92 ; 4-byte Folded Reload
	s_nop 0
	buffer_load_dword v21, off, s[0:3], s33 offset:96 ; 4-byte Folded Reload
	v_add_co_u32_e32 v12, vcc, v12, v28
	v_addc_co_u32_e32 v13, vcc, v13, v29, vcc
	v_add_co_u32_e32 v4, vcc, v4, v28
	v_addc_co_u32_e32 v5, vcc, v5, v29, vcc
	v_cmp_gt_i32_e32 vcc, 1, v15
	s_or_b64 s[36:37], vcc, s[36:37]
	global_store_dwordx4 v[26:27], v[22:25], off offset:1024 glc slc
	global_store_dwordx4 v[26:27], v[56:59], off offset:2048 glc slc
	;; [unrolled: 1-line block ×3, first 2 shown]
	v_mov_b32_e32 v23, v7
	s_andn2_b64 exec, exec, s[36:37]
	s_cbranch_execnz .LBB6_134
; %bb.135:                              ;   in Loop: Header=BB6_57 Depth=2
	s_or_b64 exec, exec, s[36:37]
	v_accvgpr_read_b32 v47, a13
	v_accvgpr_read_b32 v58, a3
	;; [unrolled: 1-line block ×6, first 2 shown]
	v_mov_b32_e32 v57, 1
.LBB6_136:                              ;   in Loop: Header=BB6_57 Depth=2
	s_or_b64 exec, exec, s[26:27]
	v_lshlrev_b32_e32 v14, 12, v3
	v_cmp_ne_u32_e32 vcc, v17, v14
	s_mov_b64 s[38:39], 0
	v_mov_b32_e32 v13, 0
                                        ; implicit-def: $vgpr18
                                        ; implicit-def: $vgpr3
	s_and_saveexec_b64 s[36:37], vcc
	s_cbranch_execz .LBB6_144
; %bb.137:                              ;   in Loop: Header=BB6_57 Depth=2
	v_lshlrev_b32_e32 v3, 6, v15
	v_accvgpr_read_b32 v5, a20
	v_sub_u32_e32 v3, v5, v3
	v_ashrrev_i32_e32 v5, 31, v3
	v_lshrrev_b32_e32 v5, 26, v5
	v_add_u32_e32 v5, v3, v5
	v_sub_u32_e32 v4, v17, v14
	v_ashrrev_i32_e32 v12, 6, v5
	v_and_b32_e32 v5, 0xffffffc0, v5
	v_sub_u32_e32 v15, v3, v5
	v_ashrrev_i32_e32 v5, 31, v4
	v_lshrrev_b32_e32 v5, 22, v5
	v_add_u32_e32 v5, v4, v5
	v_and_b32_e32 v19, 0xfffffc00, v5
	v_lshlrev_b32_e32 v3, 4, v15
	s_waitcnt vmcnt(0)
	v_sub_u32_e32 v21, v4, v19
	v_lshl_add_u32 v3, v12, 10, v3
	v_ashrrev_i32_e32 v18, 10, v5
	v_cmp_lt_i32_e32 vcc, 15, v21
	v_sub_u32_e32 v13, v4, v3
	v_addc_co_u32_e64 v4, s[26:27], 0, v18, vcc
	v_sub_u32_e32 v20, v4, v12
	v_cmp_lt_i32_e64 s[26:27], 15, v13
	s_and_saveexec_b64 s[38:39], s[26:27]
	s_cbranch_execz .LBB6_141
; %bb.138:                              ;   in Loop: Header=BB6_57 Depth=2
	s_trap 2
	ds_read_b64 v[4:5], v0
	v_add_u32_e32 v12, v3, v14
	v_ashrrev_i32_e32 v3, 31, v12
	s_mov_b64 s[40:41], 0
.LBB6_139:                              ;   Parent Loop BB6_47 Depth=1
                                        ;     Parent Loop BB6_57 Depth=2
                                        ; =>    This Inner Loop Header: Depth=3
	s_waitcnt lgkmcnt(0)
	v_add_co_u32_e64 v26, s[26:27], v4, v12
	v_addc_co_u32_e64 v27, s[26:27], v5, v3, s[26:27]
	global_load_dwordx4 v[22:25], v[26:27], off glc slc
	v_add_co_u32_e64 v12, s[26:27], v12, v1
	v_sub_u32_e32 v13, v13, v55
	v_addc_co_u32_e64 v3, s[26:27], v3, v0, s[26:27]
	v_cmp_gt_i32_e64 s[26:27], 16, v13
	v_sub_u32_e32 v20, v20, v54
	s_or_b64 s[40:41], s[26:27], s[40:41]
	s_waitcnt vmcnt(0)
	global_store_dwordx4 v[26:27], v[22:25], off glc slc
	s_andn2_b64 exec, exec, s[40:41]
	s_cbranch_execnz .LBB6_139
; %bb.140:                              ;   in Loop: Header=BB6_57 Depth=2
	s_or_b64 exec, exec, s[40:41]
	v_accvgpr_read_b32 v26, a18
	v_mov_b32_e32 v23, v7
.LBB6_141:                              ;   in Loop: Header=BB6_57 Depth=2
	s_or_b64 exec, exec, s[38:39]
	v_and_b32_e32 v4, 12, v17
	v_cndmask_b32_e32 v17, v21, v4, vcc
	v_cmp_ne_u32_e64 s[26:27], 0, v17
	s_mov_b64 s[38:39], 0
	v_mov_b32_e32 v13, 0
                                        ; implicit-def: $vgpr18
                                        ; implicit-def: $vgpr3
	s_and_saveexec_b64 s[40:41], s[26:27]
	s_cbranch_execz .LBB6_143
; %bb.142:                              ;   in Loop: Header=BB6_57 Depth=2
	v_sub_u32_e32 v3, v21, v4
	v_cndmask_b32_e32 v3, 0, v3, vcc
	v_cmp_lt_i32_e32 vcc, 0, v20
	v_add3_u32 v13, v19, v14, v3
	v_cndmask_b32_e32 v3, 0, v54, vcc
	v_sub_u32_e32 v3, v3, v20
	v_lshl_add_u32 v18, v3, 6, v15
	v_ashrrev_i32_e32 v3, 31, v18
	v_lshrrev_b32_e32 v3, 26, v3
	v_add_u32_e32 v3, v18, v3
	s_mov_b64 s[38:39], exec
	v_ashrrev_i32_e32 v3, 6, v3
.LBB6_143:                              ;   in Loop: Header=BB6_57 Depth=2
	s_or_b64 exec, exec, s[40:41]
	buffer_load_dword v20, off, s[0:3], s33 offset:92 ; 4-byte Folded Reload
	buffer_load_dword v21, off, s[0:3], s33 offset:96 ; 4-byte Folded Reload
	s_and_b64 s[38:39], s[38:39], exec
.LBB6_144:                              ;   in Loop: Header=BB6_57 Depth=2
	s_or_b64 exec, exec, s[36:37]
	s_and_saveexec_b64 s[26:27], s[38:39]
	s_cbranch_execz .LBB6_154
.LBB6_145:                              ;   in Loop: Header=BB6_57 Depth=2
	v_ashrrev_i32_e32 v4, 31, v17
	v_lshrrev_b32_e32 v4, 21, v4
	v_add_u32_e32 v4, v17, v4
	s_waitcnt vmcnt(0)
	v_ashrrev_i32_e32 v21, 11, v4
	v_sub_u32_e32 v19, v21, v3
	v_ashrrev_i32_e32 v4, 31, v18
	v_cmp_lt_i32_e32 vcc, 0, v19
	v_lshrrev_b32_e32 v20, 26, v4
	s_and_saveexec_b64 s[36:37], vcc
	s_cbranch_execz .LBB6_149
; %bb.146:                              ;   in Loop: Header=BB6_57 Depth=2
	s_trap 2
	ds_read_b64 v[4:5], v0
	v_add_u32_e32 v12, v18, v20
	v_and_b32_e32 v12, 0x3fffffc0, v12
	v_sub_u32_e32 v12, v18, v12
	v_lshlrev_b32_e32 v12, 2, v12
	v_lshlrev_b32_e32 v3, 11, v3
	v_add3_u32 v12, v12, v13, v3
	v_ashrrev_i32_e32 v3, 31, v12
	s_mov_b64 s[38:39], 0
	s_waitcnt lgkmcnt(0)
	v_pk_mov_b32 v[14:15], v[4:5], v[4:5] op_sel:[0,1]
.LBB6_147:                              ;   Parent Loop BB6_47 Depth=1
                                        ;     Parent Loop BB6_57 Depth=2
                                        ; =>    This Inner Loop Header: Depth=3
	v_add_co_u32_e32 v22, vcc, v12, v14
	v_addc_co_u32_e32 v23, vcc, v3, v15, vcc
	flat_load_dword v24, v[22:23] glc slc
	flat_load_dword v25, v[22:23] offset:256 glc slc
	flat_load_dword v26, v[22:23] offset:512 glc slc
	;; [unrolled: 1-line block ×7, first 2 shown]
	v_add_co_u32_e32 v22, vcc, v12, v4
	v_addc_co_u32_e32 v23, vcc, v3, v5, vcc
	v_add_co_u32_e32 v14, vcc, v14, v42
	v_addc_co_u32_e32 v15, vcc, v15, v31, vcc
	v_add_co_u32_e32 v4, vcc, v4, v42
	v_sub_u32_e32 v19, v19, v54
	v_addc_co_u32_e32 v5, vcc, v5, v31, vcc
	v_cmp_gt_i32_e32 vcc, 1, v19
	s_or_b64 s[38:39], vcc, s[38:39]
	s_waitcnt vmcnt(0) lgkmcnt(0)
	flat_store_dword v[22:23], v24 glc slc
	flat_store_dword v[22:23], v25 offset:256 glc slc
	flat_store_dword v[22:23], v26 offset:512 glc slc
	flat_store_dword v[22:23], v27 offset:768 glc slc
	flat_store_dword v[22:23], v38 offset:1024 glc slc
	flat_store_dword v[22:23], v39 offset:1280 glc slc
	flat_store_dword v[22:23], v53 offset:1536 glc slc
	flat_store_dword v[22:23], v40 offset:1792 glc slc
	s_andn2_b64 exec, exec, s[38:39]
	s_cbranch_execnz .LBB6_147
; %bb.148:                              ;   in Loop: Header=BB6_57 Depth=2
	s_or_b64 exec, exec, s[38:39]
	v_accvgpr_read_b32 v40, a14
	v_accvgpr_read_b32 v26, a18
	;; [unrolled: 1-line block ×3, first 2 shown]
	v_mov_b32_e32 v23, v7
.LBB6_149:                              ;   in Loop: Header=BB6_57 Depth=2
	s_or_b64 exec, exec, s[36:37]
	v_lshlrev_b32_e32 v3, 11, v21
	v_cmp_ne_u32_e32 vcc, v17, v3
	s_and_saveexec_b64 s[36:37], vcc
	s_cbranch_execz .LBB6_153
; %bb.150:                              ;   in Loop: Header=BB6_57 Depth=2
	v_add_u32_e32 v4, v18, v20
	v_and_b32_e32 v4, 0xffffffc0, v4
	v_sub_u32_e32 v4, v18, v4
	v_lshlrev_b32_e32 v5, 6, v19
	v_sub_u32_e32 v4, v4, v5
	v_ashrrev_i32_e32 v5, 31, v4
	v_lshrrev_b32_e32 v5, 26, v5
	v_add_u32_e32 v5, v4, v5
	v_and_b32_e32 v12, 0x3fffffc0, v5
	v_sub_u32_e32 v4, v4, v12
	v_lshlrev_b32_e32 v5, 2, v5
	v_and_b32_e32 v5, 0xffffff00, v5
	v_lshlrev_b32_e32 v4, 2, v4
	v_add3_u32 v3, v5, v4, v3
	v_sub_u32_e32 v14, v17, v3
	v_cmp_lt_i32_e32 vcc, 3, v14
	s_and_b64 exec, exec, vcc
	s_cbranch_execz .LBB6_153
; %bb.151:                              ;   in Loop: Header=BB6_57 Depth=2
	s_trap 2
	ds_read_b64 v[4:5], v0
	v_add_u32_e32 v12, v3, v13
	v_ashrrev_i32_e32 v3, 31, v12
	s_mov_b64 s[38:39], 0
.LBB6_152:                              ;   Parent Loop BB6_47 Depth=1
                                        ;     Parent Loop BB6_57 Depth=2
                                        ; =>    This Inner Loop Header: Depth=3
	s_waitcnt lgkmcnt(0)
	v_add_co_u32_e32 v18, vcc, v4, v12
	v_addc_co_u32_e32 v19, vcc, v5, v3, vcc
	flat_load_dword v13, v[18:19] glc slc
	v_add_co_u32_e32 v12, vcc, v12, v43
	v_sub_u32_e32 v14, v14, v60
	v_addc_co_u32_e32 v3, vcc, v3, v61, vcc
	v_cmp_gt_i32_e32 vcc, 4, v14
	s_or_b64 s[38:39], vcc, s[38:39]
	s_waitcnt vmcnt(0) lgkmcnt(0)
	flat_store_dword v[18:19], v13 glc slc
	s_andn2_b64 exec, exec, s[38:39]
	s_cbranch_execnz .LBB6_152
.LBB6_153:                              ;   in Loop: Header=BB6_57 Depth=2
	s_or_b64 exec, exec, s[36:37]
	buffer_load_dword v20, off, s[0:3], s33 offset:92 ; 4-byte Folded Reload
	buffer_load_dword v21, off, s[0:3], s33 offset:96 ; 4-byte Folded Reload
.LBB6_154:                              ;   in Loop: Header=BB6_57 Depth=2
	s_or_b64 exec, exec, s[26:27]
	v_accvgpr_read_b32 v19, a17
	v_accvgpr_read_b32 v18, a16
	s_and_saveexec_b64 s[26:27], s[10:11]
	s_cbranch_execz .LBB6_127
.LBB6_155:                              ;   in Loop: Header=BB6_57 Depth=2
	s_and_saveexec_b64 vcc, s[52:53]
	s_xor_b64 s[36:37], exec, vcc
	s_cbranch_execz .LBB6_170
; %bb.156:                              ;   in Loop: Header=BB6_57 Depth=2
	s_and_saveexec_b64 s[38:39], s[16:17]
	s_cbranch_execz .LBB6_169
; %bb.157:                              ;   in Loop: Header=BB6_57 Depth=2
	s_mov_b64 s[42:43], exec
	v_mbcnt_lo_u32_b32 v3, s42, 0
	v_mbcnt_hi_u32_b32 v3, s43, v3
	v_cmp_eq_u32_e32 vcc, 0, v3
	s_waitcnt vmcnt(0) lgkmcnt(0)
	buffer_wbinvl1_vol
	s_and_saveexec_b64 s[40:41], vcc
	s_cbranch_execz .LBB6_159
; %bb.158:                              ;   in Loop: Header=BB6_57 Depth=2
	s_bcnt1_i32_b64 vcc_lo, s[42:43]
	v_mov_b32_e32 v4, vcc_lo
	v_mov_b32_e32 v5, v52
	ds_add_u64 v0, v[4:5]
	s_trap 2
.LBB6_159:                              ;   in Loop: Header=BB6_57 Depth=2
	s_or_b64 exec, exec, s[40:41]
	s_trap 2
	ds_read_b64 v[4:5], v0
	v_add_co_u32_e32 v48, vcc, v48, v54
	v_addc_co_u32_e32 v49, vcc, 0, v49, vcc
	s_waitcnt lgkmcnt(0)
	v_cmp_lt_u64_e32 vcc, v[4:5], v[48:49]
	s_and_saveexec_b64 s[40:41], vcc
	s_cbranch_execz .LBB6_168
; %bb.160:                              ;   in Loop: Header=BB6_57 Depth=2
	s_mov_b32 s67, 0
	s_mov_b64 s[42:43], 0
                                        ; implicit-def: $sgpr44_sgpr45
                                        ; implicit-def: $sgpr60_sgpr61
	s_branch .LBB6_162
.LBB6_161:                              ;   in Loop: Header=BB6_162 Depth=3
	s_or_b64 exec, exec, s[64:65]
	s_and_b64 vcc, exec, vcc
	s_or_b64 s[42:43], vcc, s[42:43]
	s_andn2_b64 vcc, s[44:45], exec
	s_and_b64 s[44:45], s[60:61], exec
	s_or_b64 s[44:45], vcc, s[44:45]
	s_andn2_b64 exec, exec, s[42:43]
	s_cbranch_execz .LBB6_166
.LBB6_162:                              ;   Parent Loop BB6_47 Depth=1
                                        ;     Parent Loop BB6_57 Depth=2
                                        ; =>    This Inner Loop Header: Depth=3
	s_add_i32 s67, s67, 1
	s_cmpk_lg_i32 s67, 0x2710
	s_cselect_b64 s[62:63], -1, 0
	s_and_b64 vcc, exec, s[62:63]
                                        ; implicit-def: $sgpr64_sgpr65
	s_cbranch_vccnz .LBB6_164
; %bb.163:                              ;   in Loop: Header=BB6_162 Depth=3
	s_trap 2
	ds_read_b64 v[4:5], v0
	s_andn2_b64 s[62:63], s[62:63], exec
	s_mov_b32 s67, 0
	s_mov_b64 s[64:65], -1
	s_waitcnt lgkmcnt(0)
	flat_load_dword v3, v[4:5] glc
	s_waitcnt vmcnt(0) lgkmcnt(0)
	buffer_invl2
	buffer_wbinvl1_vol
	v_cmp_eq_u32_e32 vcc, 0, v3
	s_and_b64 vcc, vcc, exec
	s_or_b64 s[62:63], s[62:63], vcc
.LBB6_164:                              ;   in Loop: Header=BB6_162 Depth=3
	s_andn2_b64 s[60:61], s[60:61], exec
	s_and_b64 s[64:65], s[64:65], exec
	s_mov_b64 vcc, -1
	s_or_b64 s[60:61], s[60:61], s[64:65]
	s_and_saveexec_b64 s[64:65], s[62:63]
	s_cbranch_execz .LBB6_161
; %bb.165:                              ;   in Loop: Header=BB6_162 Depth=3
	s_sleep 1
	s_trap 2
	ds_read_b64 v[4:5], v0
	s_andn2_b64 s[60:61], s[60:61], exec
	s_waitcnt lgkmcnt(0)
	v_cmp_ge_u64_e32 vcc, v[4:5], v[48:49]
	s_orn2_b64 vcc, vcc, exec
	s_branch .LBB6_161
.LBB6_166:                              ;   in Loop: Header=BB6_57 Depth=2
	s_or_b64 exec, exec, s[42:43]
	s_and_saveexec_b64 vcc, s[44:45]
	s_xor_b64 vcc, exec, vcc
	s_cbranch_execz .LBB6_168
; %bb.167:                              ;   in Loop: Header=BB6_57 Depth=2
	ds_write_b32 v0, v57
	s_trap 2
.LBB6_168:                              ;   in Loop: Header=BB6_57 Depth=2
	s_or_b64 exec, exec, s[40:41]
	;;#ASMSTART
	s_wakeup
	;;#ASMEND
.LBB6_169:                              ;   in Loop: Header=BB6_57 Depth=2
	s_or_b64 exec, exec, s[38:39]
.LBB6_170:                              ;   in Loop: Header=BB6_57 Depth=2
	s_andn2_saveexec_b64 vcc, s[36:37]
	s_cbranch_execz .LBB6_172
; %bb.171:                              ;   in Loop: Header=BB6_57 Depth=2
	s_waitcnt vmcnt(0) lgkmcnt(0)
	buffer_wbinvl1_vol
	s_barrier
.LBB6_172:                              ;   in Loop: Header=BB6_57 Depth=2
	s_or_b64 exec, exec, vcc
	s_or_b64 exec, exec, s[26:27]
                                        ; implicit-def: $vgpr3
	s_and_saveexec_b64 s[26:27], s[22:23]
	s_xor_b64 s[36:37], exec, s[26:27]
	s_cbranch_execnz .LBB6_128
.LBB6_173:                              ;   in Loop: Header=BB6_57 Depth=2
	s_andn2_saveexec_b64 s[26:27], s[36:37]
	s_cbranch_execz .LBB6_131
.LBB6_174:                              ;   in Loop: Header=BB6_57 Depth=2
	s_and_saveexec_b64 vcc, s[52:53]
	s_xor_b64 s[36:37], exec, vcc
	s_cbranch_execz .LBB6_189
; %bb.175:                              ;   in Loop: Header=BB6_57 Depth=2
	s_and_saveexec_b64 s[38:39], s[16:17]
	s_cbranch_execz .LBB6_188
; %bb.176:                              ;   in Loop: Header=BB6_57 Depth=2
	s_mov_b64 s[42:43], exec
	v_mbcnt_lo_u32_b32 v3, s42, 0
	v_mbcnt_hi_u32_b32 v3, s43, v3
	v_cmp_eq_u32_e32 vcc, 0, v3
	;;#ASMSTART
	s_waitcnt lgkmcnt(0) vmcnt(0)
	;;#ASMEND
	s_and_saveexec_b64 s[40:41], vcc
	s_cbranch_execz .LBB6_178
; %bb.177:                              ;   in Loop: Header=BB6_57 Depth=2
	s_bcnt1_i32_b64 vcc_lo, s[42:43]
	v_mov_b32_e32 v4, vcc_lo
	v_mov_b32_e32 v5, v52
	ds_add_u64 v0, v[4:5]
	s_trap 2
.LBB6_178:                              ;   in Loop: Header=BB6_57 Depth=2
	s_or_b64 exec, exec, s[40:41]
	s_trap 2
	ds_read_b64 v[4:5], v0
	v_add_co_u32_e32 v48, vcc, v48, v54
	v_addc_co_u32_e32 v49, vcc, 0, v49, vcc
	s_waitcnt lgkmcnt(0)
	v_cmp_lt_u64_e32 vcc, v[4:5], v[48:49]
	s_and_saveexec_b64 s[40:41], vcc
	s_cbranch_execz .LBB6_187
; %bb.179:                              ;   in Loop: Header=BB6_57 Depth=2
	s_mov_b32 s67, 0
	s_mov_b64 s[42:43], 0
                                        ; implicit-def: $sgpr44_sgpr45
                                        ; implicit-def: $sgpr60_sgpr61
	s_branch .LBB6_181
.LBB6_180:                              ;   in Loop: Header=BB6_181 Depth=3
	s_or_b64 exec, exec, s[64:65]
	s_and_b64 vcc, exec, vcc
	s_or_b64 s[42:43], vcc, s[42:43]
	s_andn2_b64 vcc, s[44:45], exec
	s_and_b64 s[44:45], s[60:61], exec
	s_or_b64 s[44:45], vcc, s[44:45]
	s_andn2_b64 exec, exec, s[42:43]
	s_cbranch_execz .LBB6_185
.LBB6_181:                              ;   Parent Loop BB6_47 Depth=1
                                        ;     Parent Loop BB6_57 Depth=2
                                        ; =>    This Inner Loop Header: Depth=3
	s_add_i32 s67, s67, 1
	s_cmpk_lg_i32 s67, 0x2710
	s_cselect_b64 s[62:63], -1, 0
	s_and_b64 vcc, exec, s[62:63]
                                        ; implicit-def: $sgpr64_sgpr65
	s_cbranch_vccnz .LBB6_183
; %bb.182:                              ;   in Loop: Header=BB6_181 Depth=3
	s_trap 2
	ds_read_b64 v[4:5], v0
	s_andn2_b64 s[62:63], s[62:63], exec
	s_mov_b32 s67, 0
	s_mov_b64 s[64:65], -1
	s_waitcnt vmcnt(0) lgkmcnt(0)
	flat_load_dword v3, v[4:5] glc
	s_waitcnt vmcnt(0) lgkmcnt(0)
	buffer_invl2
	buffer_wbinvl1_vol
	v_cmp_eq_u32_e32 vcc, 0, v3
	s_and_b64 vcc, vcc, exec
	s_or_b64 s[62:63], s[62:63], vcc
.LBB6_183:                              ;   in Loop: Header=BB6_181 Depth=3
	s_andn2_b64 s[60:61], s[60:61], exec
	s_and_b64 s[64:65], s[64:65], exec
	s_mov_b64 vcc, -1
	s_or_b64 s[60:61], s[60:61], s[64:65]
	s_and_saveexec_b64 s[64:65], s[62:63]
	s_cbranch_execz .LBB6_180
; %bb.184:                              ;   in Loop: Header=BB6_181 Depth=3
	s_sleep 1
	s_trap 2
	ds_read_b64 v[4:5], v0
	s_andn2_b64 s[60:61], s[60:61], exec
	s_waitcnt lgkmcnt(0)
	v_cmp_ge_u64_e32 vcc, v[4:5], v[48:49]
	s_orn2_b64 vcc, vcc, exec
	s_branch .LBB6_180
.LBB6_185:                              ;   in Loop: Header=BB6_57 Depth=2
	s_or_b64 exec, exec, s[42:43]
	s_and_saveexec_b64 vcc, s[44:45]
	s_xor_b64 vcc, exec, vcc
	s_cbranch_execz .LBB6_187
; %bb.186:                              ;   in Loop: Header=BB6_57 Depth=2
	ds_write_b32 v0, v57
	s_trap 2
.LBB6_187:                              ;   in Loop: Header=BB6_57 Depth=2
	s_or_b64 exec, exec, s[40:41]
	;;#ASMSTART
	s_wakeup
	;;#ASMEND
.LBB6_188:                              ;   in Loop: Header=BB6_57 Depth=2
	s_or_b64 exec, exec, s[38:39]
.LBB6_189:                              ;   in Loop: Header=BB6_57 Depth=2
	s_andn2_saveexec_b64 vcc, s[36:37]
	s_cbranch_execz .LBB6_191
; %bb.190:                              ;   in Loop: Header=BB6_57 Depth=2
	;;#ASMSTART
	s_waitcnt lgkmcnt(0) vmcnt(0)
	;;#ASMEND
	s_barrier
.LBB6_191:                              ;   in Loop: Header=BB6_57 Depth=2
	s_or_b64 exec, exec, vcc
	v_and_b32_e32 v3, 16, v62
	s_or_b64 exec, exec, s[26:27]
	v_cmp_ne_u32_e32 vcc, 0, v3
	s_and_saveexec_b64 s[26:27], vcc
	s_cbranch_execz .LBB6_56
.LBB6_192:                              ;   in Loop: Header=BB6_57 Depth=2
	s_and_saveexec_b64 vcc, s[14:15]
	s_cbranch_execz .LBB6_55
; %bb.193:                              ;   in Loop: Header=BB6_57 Depth=2
	flat_store_dword v[46:47], v57
	s_branch .LBB6_55
.LBB6_194:                              ;   in Loop: Header=BB6_47 Depth=1
	s_or_b64 exec, exec, s[30:31]
.LBB6_195:                              ;   in Loop: Header=BB6_47 Depth=1
	s_or_b64 exec, exec, s[28:29]
	v_cmp_gt_i32_e32 vcc, 2, v3
	s_and_saveexec_b64 s[28:29], vcc
	s_cbranch_execz .LBB6_267
; %bb.196:                              ;   in Loop: Header=BB6_47 Depth=1
	v_cmp_eq_u32_e64 s[26:27], 0, v3
	s_mov_b64 s[30:31], 0
	s_branch .LBB6_199
.LBB6_197:                              ;   in Loop: Header=BB6_199 Depth=2
	s_or_b64 exec, exec, vcc
	v_add_co_u32_e32 v32, vcc, 2, v32
	v_addc_co_u32_e32 v33, vcc, 0, v33, vcc
	flat_store_dwordx2 v[34:35], v[32:33]
.LBB6_198:                              ;   in Loop: Header=BB6_199 Depth=2
	s_or_b64 exec, exec, s[26:27]
	v_add_u32_e32 v8, v2, v8
	s_mov_b64 s[26:27], 0
	s_andn2_b64 exec, exec, s[30:31]
	s_cbranch_execz .LBB6_266
.LBB6_199:                              ;   Parent Loop BB6_47 Depth=1
                                        ; =>  This Loop Header: Depth=2
                                        ;       Child Loop BB6_205 Depth 3
                                        ;       Child Loop BB6_234 Depth 3
	;; [unrolled: 1-line block ×3, first 2 shown]
	v_and_b32_e32 v3, 8, v62
	s_mov_b64 s[36:37], -1
	v_cmp_ne_u32_e32 vcc, 0, v3
	s_and_saveexec_b64 s[34:35], vcc
	s_cbranch_execz .LBB6_211
; %bb.200:                              ;   in Loop: Header=BB6_199 Depth=2
	v_add_co_u32_e32 v10, vcc, 8, v50
	v_addc_co_u32_e32 v11, vcc, 0, v51, vcc
	v_add_co_u32_e32 v4, vcc, 2, v32
	v_addc_co_u32_e32 v5, vcc, 0, v33, vcc
	v_cmp_lt_u64_e32 vcc, v[10:11], v[4:5]
	v_mov_b32_e32 v3, 1
	s_and_saveexec_b64 s[36:37], vcc
	s_cbranch_execz .LBB6_210
; %bb.201:                              ;   in Loop: Header=BB6_199 Depth=2
	s_mov_b64 s[38:39], 0
	v_mov_b32_e32 v3, 0
                                        ; implicit-def: $sgpr40_sgpr41
	s_branch .LBB6_205
.LBB6_202:                              ;   in Loop: Header=BB6_205 Depth=3
	s_or_b64 exec, exec, s[62:63]
	v_mov_b32_e32 v9, 0
	s_orn2_b64 s[60:61], s[60:61], exec
.LBB6_203:                              ;   in Loop: Header=BB6_205 Depth=3
	s_or_b64 exec, exec, s[44:45]
	s_andn2_b64 vcc, s[40:41], exec
	s_and_b64 s[40:41], s[60:61], exec
	s_or_b64 s[40:41], vcc, s[40:41]
	v_mov_b32_e32 v3, v9
.LBB6_204:                              ;   in Loop: Header=BB6_205 Depth=3
	s_or_b64 exec, exec, s[42:43]
	s_waitcnt vmcnt(0) lgkmcnt(0)
	v_add_co_u32_e32 v10, vcc, 8, v50
	v_addc_co_u32_e32 v11, vcc, 0, v51, vcc
	v_cmp_ge_u64_e32 vcc, v[10:11], v[4:5]
	s_xor_b64 s[42:43], s[40:41], -1
	s_or_b64 vcc, s[42:43], vcc
	s_and_b64 vcc, exec, vcc
	s_or_b64 s[38:39], vcc, s[38:39]
	s_andn2_b64 exec, exec, s[38:39]
	s_cbranch_execz .LBB6_209
.LBB6_205:                              ;   Parent Loop BB6_47 Depth=1
                                        ;     Parent Loop BB6_199 Depth=2
                                        ; =>    This Inner Loop Header: Depth=3
	s_sleep 1
	flat_load_dwordx2 v[50:51], v[34:35] glc
	v_and_b32_e32 v9, 64, v62
	v_cmp_eq_u32_e32 vcc, 0, v9
	s_andn2_b64 s[40:41], s[40:41], exec
	s_and_saveexec_b64 s[42:43], vcc
	s_cbranch_execz .LBB6_204
; %bb.206:                              ;   in Loop: Header=BB6_205 Depth=3
	v_add_u32_e32 v9, 1, v3
	v_cmp_lt_i32_e32 vcc, s85, v3
	s_mov_b64 s[60:61], -1
	s_and_saveexec_b64 s[44:45], vcc
	s_cbranch_execz .LBB6_203
; %bb.207:                              ;   in Loop: Header=BB6_205 Depth=3
	s_trap 2
	ds_read_b64 v[10:11], v0
	s_waitcnt vmcnt(0) lgkmcnt(0)
	flat_load_dword v3, v[10:11] glc
	s_waitcnt vmcnt(0) lgkmcnt(0)
	buffer_invl2
	buffer_wbinvl1_vol
	v_cmp_ne_u32_e32 vcc, 0, v3
	s_and_saveexec_b64 s[62:63], vcc
	s_cbranch_execz .LBB6_202
; %bb.208:                              ;   in Loop: Header=BB6_205 Depth=3
	v_or_b32_e32 v62, 64, v62
	s_xor_b64 s[60:61], exec, -1
	ds_write_b32 v0, v3
	s_trap 2
	s_branch .LBB6_202
.LBB6_209:                              ;   in Loop: Header=BB6_199 Depth=2
	s_or_b64 exec, exec, s[38:39]
	v_and_b32_e32 v3, 8, v62
.LBB6_210:                              ;   in Loop: Header=BB6_199 Depth=2
	s_or_b64 exec, exec, s[36:37]
	v_cmp_eq_u32_e32 vcc, 0, v3
	s_orn2_b64 s[36:37], vcc, exec
	;;#ASMSTART
	s_wakeup
	;;#ASMEND
.LBB6_211:                              ;   in Loop: Header=BB6_199 Depth=2
	s_or_b64 exec, exec, s[34:35]
	s_xor_b64 s[26:27], s[26:27], -1
	s_and_b64 s[26:27], exec, s[26:27]
	s_or_b64 s[30:31], s[26:27], s[30:31]
	v_sub_u32_e32 v3, v16, v8
	s_xor_b64 s[26:27], s[36:37], -1
	v_min_i32_e32 v2, v2, v3
	s_and_saveexec_b64 s[34:35], s[26:27]
	s_cbranch_execz .LBB6_226
; %bb.212:                              ;   in Loop: Header=BB6_199 Depth=2
	v_and_b32_e32 v3, 0x100, v62
	v_cmp_ne_u32_e32 vcc, 0, v3
	v_and_b32_e32 v9, 7, v32
	s_mov_b64 s[26:27], -1
                                        ; implicit-def: $vgpr4_vgpr5
	s_and_saveexec_b64 s[36:37], vcc
	s_cbranch_execz .LBB6_216
; %bb.213:                              ;   in Loop: Header=BB6_199 Depth=2
	v_accvgpr_read_b32 v4, a24
	v_accvgpr_read_b32 v5, a25
	v_mad_u64_u32 v[10:11], s[26:27], v9, 24, v[4:5]
	flat_load_dword v12, v[10:11]
	v_ashrrev_i32_e32 v3, 31, v2
	v_lshlrev_b64 v[4:5], 2, v[2:3]
	flat_store_dwordx2 v[10:11], v[4:5] offset:8
                                        ; implicit-def: $vgpr4_vgpr5
	s_waitcnt vmcnt(0) lgkmcnt(0)
	v_cmp_ne_u32_e32 vcc, 1, v12
	v_cmp_eq_u32_e64 s[26:27], 1, v12
	s_and_saveexec_b64 s[38:39], s[26:27]
	s_cbranch_execz .LBB6_215
; %bb.214:                              ;   in Loop: Header=BB6_199 Depth=2
	flat_load_dword v4, v[10:11] offset:4 glc
	s_waitcnt vmcnt(0) lgkmcnt(0)
	v_ashrrev_i32_e32 v5, 31, v4
	v_lshrrev_b64 v[4:5], 2, v[4:5]
.LBB6_215:                              ;   in Loop: Header=BB6_199 Depth=2
	s_or_b64 exec, exec, s[38:39]
	s_orn2_b64 s[26:27], vcc, exec
.LBB6_216:                              ;   in Loop: Header=BB6_199 Depth=2
	s_or_b64 exec, exec, s[36:37]
	s_and_saveexec_b64 vcc, s[26:27]
; %bb.217:                              ;   in Loop: Header=BB6_199 Depth=2
	v_mad_i64_i32 v[4:5], s[26:27], v9, v30, 0
; %bb.218:                              ;   in Loop: Header=BB6_199 Depth=2
	s_or_b64 exec, exec, vcc
	v_lshlrev_b64 v[4:5], 2, v[4:5]
	v_add_co_u32_e32 v4, vcc, v36, v4
	v_addc_co_u32_e32 v5, vcc, v37, v5, vcc
	v_and_b32_e32 v3, 0x2000, v62
	v_cmp_ne_u32_e32 vcc, 0, v3
	ds_write_b64 v0, v[4:5] offset:784
	s_and_saveexec_b64 s[26:27], vcc
	s_cbranch_execz .LBB6_220
; %bb.219:                              ;   in Loop: Header=BB6_199 Depth=2
	ds_read_b64 v[4:5], v0 offset:584
	s_waitcnt lgkmcnt(0)
	v_add_co_u32_e32 v4, vcc, 1, v4
	v_addc_co_u32_e32 v5, vcc, 0, v5, vcc
	ds_write_b64 v0, v[4:5] offset:584
.LBB6_220:                              ;   in Loop: Header=BB6_199 Depth=2
	s_or_b64 exec, exec, s[26:27]
	v_add_co_u32_e32 v32, vcc, 2, v32
	v_addc_co_u32_e32 v33, vcc, 0, v33, vcc
	s_or_b64 exec, exec, s[34:35]
	s_and_saveexec_b64 s[26:27], s[10:11]
	s_cbranch_execnz .LBB6_227
.LBB6_221:                              ;   in Loop: Header=BB6_199 Depth=2
	s_or_b64 exec, exec, s[26:27]
                                        ; implicit-def: $vgpr3
	s_and_saveexec_b64 s[26:27], s[22:23]
	s_xor_b64 s[26:27], exec, s[26:27]
	s_cbranch_execz .LBB6_245
.LBB6_222:                              ;   in Loop: Header=BB6_199 Depth=2
	s_trap 2
	ds_read_b32 v4, v0
	v_cmp_lt_i32_e32 vcc, 0, v2
	v_and_b32_e32 v5, 16, v62
	v_and_b32_e32 v3, 16, v62
	s_waitcnt lgkmcnt(0)
	v_readfirstlane_b32 s34, v4
	s_cmp_eq_u32 s34, 0
	s_cselect_b64 s[34:35], -1, 0
	s_and_b64 s[34:35], vcc, s[34:35]
	v_cmp_ne_u32_e32 vcc, 0, v5
	s_and_b64 s[34:35], vcc, s[34:35]
	s_and_saveexec_b64 vcc, s[34:35]
	s_cbranch_execz .LBB6_224
; %bb.223:                              ;   in Loop: Header=BB6_199 Depth=2
	v_mov_b32_e32 v3, 1
	s_waitcnt vmcnt(0)
	buffer_wbinvl1_vol
.LBB6_224:                              ;   in Loop: Header=BB6_199 Depth=2
	s_or_b64 exec, exec, vcc
	s_andn2_saveexec_b64 s[26:27], s[26:27]
	s_cbranch_execnz .LBB6_246
.LBB6_225:                              ;   in Loop: Header=BB6_199 Depth=2
	s_or_b64 exec, exec, s[26:27]
	v_cmp_ne_u32_e32 vcc, 0, v3
	s_and_saveexec_b64 s[26:27], vcc
	s_cbranch_execz .LBB6_198
	s_branch .LBB6_264
.LBB6_226:                              ;   in Loop: Header=BB6_199 Depth=2
	s_or_b64 exec, exec, s[34:35]
	s_and_saveexec_b64 s[26:27], s[10:11]
	s_cbranch_execz .LBB6_221
.LBB6_227:                              ;   in Loop: Header=BB6_199 Depth=2
	s_and_saveexec_b64 vcc, s[52:53]
	s_xor_b64 s[34:35], exec, vcc
	s_cbranch_execz .LBB6_242
; %bb.228:                              ;   in Loop: Header=BB6_199 Depth=2
	s_and_saveexec_b64 s[36:37], s[16:17]
	s_cbranch_execz .LBB6_241
; %bb.229:                              ;   in Loop: Header=BB6_199 Depth=2
	s_mov_b64 s[40:41], exec
	v_mbcnt_lo_u32_b32 v3, s40, 0
	v_mbcnt_hi_u32_b32 v3, s41, v3
	v_cmp_eq_u32_e32 vcc, 0, v3
	s_waitcnt vmcnt(0) lgkmcnt(0)
	buffer_wbinvl1_vol
	s_and_saveexec_b64 s[38:39], vcc
	s_cbranch_execz .LBB6_231
; %bb.230:                              ;   in Loop: Header=BB6_199 Depth=2
	s_bcnt1_i32_b64 vcc_lo, s[40:41]
	v_mov_b32_e32 v4, vcc_lo
	v_mov_b32_e32 v5, v52
	ds_add_u64 v0, v[4:5]
	s_trap 2
.LBB6_231:                              ;   in Loop: Header=BB6_199 Depth=2
	s_or_b64 exec, exec, s[38:39]
	s_trap 2
	ds_read_b64 v[4:5], v0
	v_add_co_u32_e32 v48, vcc, v48, v54
	v_addc_co_u32_e32 v49, vcc, 0, v49, vcc
	s_waitcnt lgkmcnt(0)
	v_cmp_lt_u64_e32 vcc, v[4:5], v[48:49]
	s_and_saveexec_b64 s[38:39], vcc
	s_cbranch_execz .LBB6_240
; %bb.232:                              ;   in Loop: Header=BB6_199 Depth=2
	s_mov_b32 s64, 0
	s_mov_b64 s[40:41], 0
                                        ; implicit-def: $sgpr42_sgpr43
                                        ; implicit-def: $sgpr44_sgpr45
	s_branch .LBB6_234
.LBB6_233:                              ;   in Loop: Header=BB6_234 Depth=3
	s_or_b64 exec, exec, s[62:63]
	s_and_b64 vcc, exec, vcc
	s_or_b64 s[40:41], vcc, s[40:41]
	s_andn2_b64 vcc, s[42:43], exec
	s_and_b64 s[42:43], s[44:45], exec
	s_or_b64 s[42:43], vcc, s[42:43]
	s_andn2_b64 exec, exec, s[40:41]
	s_cbranch_execz .LBB6_238
.LBB6_234:                              ;   Parent Loop BB6_47 Depth=1
                                        ;     Parent Loop BB6_199 Depth=2
                                        ; =>    This Inner Loop Header: Depth=3
	s_add_i32 s64, s64, 1
	s_cmpk_lg_i32 s64, 0x2710
	s_cselect_b64 s[60:61], -1, 0
	s_and_b64 vcc, exec, s[60:61]
                                        ; implicit-def: $sgpr62_sgpr63
	s_cbranch_vccnz .LBB6_236
; %bb.235:                              ;   in Loop: Header=BB6_234 Depth=3
	s_trap 2
	ds_read_b64 v[4:5], v0
	s_andn2_b64 s[60:61], s[60:61], exec
	s_mov_b32 s64, 0
	s_mov_b64 s[62:63], -1
	s_waitcnt lgkmcnt(0)
	flat_load_dword v3, v[4:5] glc
	s_waitcnt vmcnt(0) lgkmcnt(0)
	buffer_invl2
	buffer_wbinvl1_vol
	v_cmp_eq_u32_e32 vcc, 0, v3
	s_and_b64 vcc, vcc, exec
	s_or_b64 s[60:61], s[60:61], vcc
.LBB6_236:                              ;   in Loop: Header=BB6_234 Depth=3
	s_andn2_b64 s[44:45], s[44:45], exec
	s_and_b64 s[62:63], s[62:63], exec
	s_mov_b64 vcc, -1
	s_or_b64 s[44:45], s[44:45], s[62:63]
	s_and_saveexec_b64 s[62:63], s[60:61]
	s_cbranch_execz .LBB6_233
; %bb.237:                              ;   in Loop: Header=BB6_234 Depth=3
	s_sleep 1
	s_trap 2
	ds_read_b64 v[4:5], v0
	s_andn2_b64 s[44:45], s[44:45], exec
	s_waitcnt lgkmcnt(0)
	v_cmp_ge_u64_e32 vcc, v[4:5], v[48:49]
	s_orn2_b64 vcc, vcc, exec
	s_branch .LBB6_233
.LBB6_238:                              ;   in Loop: Header=BB6_199 Depth=2
	s_or_b64 exec, exec, s[40:41]
	s_and_saveexec_b64 vcc, s[42:43]
	s_xor_b64 vcc, exec, vcc
	s_cbranch_execz .LBB6_240
; %bb.239:                              ;   in Loop: Header=BB6_199 Depth=2
	ds_write_b32 v0, v57
	s_trap 2
.LBB6_240:                              ;   in Loop: Header=BB6_199 Depth=2
	s_or_b64 exec, exec, s[38:39]
	;;#ASMSTART
	s_wakeup
	;;#ASMEND
.LBB6_241:                              ;   in Loop: Header=BB6_199 Depth=2
	s_or_b64 exec, exec, s[36:37]
.LBB6_242:                              ;   in Loop: Header=BB6_199 Depth=2
	s_andn2_saveexec_b64 vcc, s[34:35]
	s_cbranch_execz .LBB6_244
; %bb.243:                              ;   in Loop: Header=BB6_199 Depth=2
	s_waitcnt vmcnt(0) lgkmcnt(0)
	buffer_wbinvl1_vol
	s_barrier
.LBB6_244:                              ;   in Loop: Header=BB6_199 Depth=2
	s_or_b64 exec, exec, vcc
	s_or_b64 exec, exec, s[26:27]
                                        ; implicit-def: $vgpr3
	s_and_saveexec_b64 s[26:27], s[22:23]
	s_xor_b64 s[26:27], exec, s[26:27]
	s_cbranch_execnz .LBB6_222
.LBB6_245:                              ;   in Loop: Header=BB6_199 Depth=2
	s_andn2_saveexec_b64 s[26:27], s[26:27]
	s_cbranch_execz .LBB6_225
.LBB6_246:                              ;   in Loop: Header=BB6_199 Depth=2
	s_and_saveexec_b64 vcc, s[52:53]
	s_xor_b64 s[34:35], exec, vcc
	s_cbranch_execz .LBB6_261
; %bb.247:                              ;   in Loop: Header=BB6_199 Depth=2
	s_and_saveexec_b64 s[36:37], s[16:17]
	s_cbranch_execz .LBB6_260
; %bb.248:                              ;   in Loop: Header=BB6_199 Depth=2
	s_mov_b64 s[40:41], exec
	v_mbcnt_lo_u32_b32 v3, s40, 0
	v_mbcnt_hi_u32_b32 v3, s41, v3
	v_cmp_eq_u32_e32 vcc, 0, v3
	;;#ASMSTART
	s_waitcnt lgkmcnt(0) vmcnt(0)
	;;#ASMEND
	s_and_saveexec_b64 s[38:39], vcc
	s_cbranch_execz .LBB6_250
; %bb.249:                              ;   in Loop: Header=BB6_199 Depth=2
	s_bcnt1_i32_b64 vcc_lo, s[40:41]
	v_mov_b32_e32 v4, vcc_lo
	v_mov_b32_e32 v5, v52
	ds_add_u64 v0, v[4:5]
	s_trap 2
.LBB6_250:                              ;   in Loop: Header=BB6_199 Depth=2
	s_or_b64 exec, exec, s[38:39]
	s_trap 2
	ds_read_b64 v[4:5], v0
	v_add_co_u32_e32 v48, vcc, v48, v54
	v_addc_co_u32_e32 v49, vcc, 0, v49, vcc
	s_waitcnt lgkmcnt(0)
	v_cmp_lt_u64_e32 vcc, v[4:5], v[48:49]
	s_and_saveexec_b64 s[38:39], vcc
	s_cbranch_execz .LBB6_259
; %bb.251:                              ;   in Loop: Header=BB6_199 Depth=2
	s_mov_b32 s64, 0
	s_mov_b64 s[40:41], 0
                                        ; implicit-def: $sgpr42_sgpr43
                                        ; implicit-def: $sgpr44_sgpr45
	s_branch .LBB6_253
.LBB6_252:                              ;   in Loop: Header=BB6_253 Depth=3
	s_or_b64 exec, exec, s[62:63]
	s_and_b64 vcc, exec, vcc
	s_or_b64 s[40:41], vcc, s[40:41]
	s_andn2_b64 vcc, s[42:43], exec
	s_and_b64 s[42:43], s[44:45], exec
	s_or_b64 s[42:43], vcc, s[42:43]
	s_andn2_b64 exec, exec, s[40:41]
	s_cbranch_execz .LBB6_257
.LBB6_253:                              ;   Parent Loop BB6_47 Depth=1
                                        ;     Parent Loop BB6_199 Depth=2
                                        ; =>    This Inner Loop Header: Depth=3
	s_add_i32 s64, s64, 1
	s_cmpk_lg_i32 s64, 0x2710
	s_cselect_b64 s[60:61], -1, 0
	s_and_b64 vcc, exec, s[60:61]
                                        ; implicit-def: $sgpr62_sgpr63
	s_cbranch_vccnz .LBB6_255
; %bb.254:                              ;   in Loop: Header=BB6_253 Depth=3
	s_trap 2
	ds_read_b64 v[4:5], v0
	s_andn2_b64 s[60:61], s[60:61], exec
	s_mov_b32 s64, 0
	s_mov_b64 s[62:63], -1
	s_waitcnt vmcnt(0) lgkmcnt(0)
	flat_load_dword v3, v[4:5] glc
	s_waitcnt vmcnt(0) lgkmcnt(0)
	buffer_invl2
	buffer_wbinvl1_vol
	v_cmp_eq_u32_e32 vcc, 0, v3
	s_and_b64 vcc, vcc, exec
	s_or_b64 s[60:61], s[60:61], vcc
.LBB6_255:                              ;   in Loop: Header=BB6_253 Depth=3
	s_andn2_b64 s[44:45], s[44:45], exec
	s_and_b64 s[62:63], s[62:63], exec
	s_mov_b64 vcc, -1
	s_or_b64 s[44:45], s[44:45], s[62:63]
	s_and_saveexec_b64 s[62:63], s[60:61]
	s_cbranch_execz .LBB6_252
; %bb.256:                              ;   in Loop: Header=BB6_253 Depth=3
	s_sleep 1
	s_trap 2
	ds_read_b64 v[4:5], v0
	s_andn2_b64 s[44:45], s[44:45], exec
	s_waitcnt lgkmcnt(0)
	v_cmp_ge_u64_e32 vcc, v[4:5], v[48:49]
	s_orn2_b64 vcc, vcc, exec
	s_branch .LBB6_252
.LBB6_257:                              ;   in Loop: Header=BB6_199 Depth=2
	s_or_b64 exec, exec, s[40:41]
	s_and_saveexec_b64 vcc, s[42:43]
	s_xor_b64 vcc, exec, vcc
	s_cbranch_execz .LBB6_259
; %bb.258:                              ;   in Loop: Header=BB6_199 Depth=2
	ds_write_b32 v0, v57
	s_trap 2
.LBB6_259:                              ;   in Loop: Header=BB6_199 Depth=2
	s_or_b64 exec, exec, s[38:39]
	;;#ASMSTART
	s_wakeup
	;;#ASMEND
.LBB6_260:                              ;   in Loop: Header=BB6_199 Depth=2
	s_or_b64 exec, exec, s[36:37]
.LBB6_261:                              ;   in Loop: Header=BB6_199 Depth=2
	s_andn2_saveexec_b64 vcc, s[34:35]
	s_cbranch_execz .LBB6_263
; %bb.262:                              ;   in Loop: Header=BB6_199 Depth=2
	;;#ASMSTART
	s_waitcnt lgkmcnt(0) vmcnt(0)
	;;#ASMEND
	s_barrier
.LBB6_263:                              ;   in Loop: Header=BB6_199 Depth=2
	s_or_b64 exec, exec, vcc
	v_and_b32_e32 v3, 16, v62
	s_or_b64 exec, exec, s[26:27]
	v_cmp_ne_u32_e32 vcc, 0, v3
	s_and_saveexec_b64 s[26:27], vcc
	s_cbranch_execz .LBB6_198
.LBB6_264:                              ;   in Loop: Header=BB6_199 Depth=2
	s_and_saveexec_b64 vcc, s[14:15]
	s_cbranch_execz .LBB6_197
; %bb.265:                              ;   in Loop: Header=BB6_199 Depth=2
	flat_store_dword v[46:47], v57
	s_branch .LBB6_197
.LBB6_266:                              ;   in Loop: Header=BB6_47 Depth=1
	s_or_b64 exec, exec, s[30:31]
.LBB6_267:                              ;   in Loop: Header=BB6_47 Depth=1
	s_or_b64 exec, exec, s[28:29]
	v_cndmask_b32_e64 v2, 0, 1, s[54:55]
	v_cmp_ne_u32_e64 s[26:27], 1, v2
	s_andn2_b64 vcc, exec, s[54:55]
	s_cbranch_vccnz .LBB6_493
; %bb.268:                              ;   in Loop: Header=BB6_47 Depth=1
	s_mov_b32 s68, 2
	s_branch .LBB6_271
.LBB6_269:                              ;   in Loop: Header=BB6_271 Depth=2
	s_or_b64 exec, exec, s[34:35]
.LBB6_270:                              ;   in Loop: Header=BB6_271 Depth=2
	s_or_b64 exec, exec, s[30:31]
	s_add_i32 s68, s68, 1
	s_cmp_eq_u32 s68, s72
	s_cbranch_scc1 .LBB6_492
.LBB6_271:                              ;   Parent Loop BB6_47 Depth=1
                                        ; =>  This Loop Header: Depth=2
                                        ;       Child Loop BB6_274 Depth 3
                                        ;         Child Loop BB6_282 Depth 4
                                        ;         Child Loop BB6_310 Depth 4
	;; [unrolled: 1-line block ×9, first 2 shown]
                                        ;       Child Loop BB6_420 Depth 3
                                        ;         Child Loop BB6_426 Depth 4
                                        ;         Child Loop BB6_466 Depth 4
	;; [unrolled: 1-line block ×3, first 2 shown]
	s_sub_i32 s28, s78, s68
	s_cmp_le_i32 s72, s28
	s_cselect_b32 s29, s72, 0
	s_sub_i32 s28, s28, s29
	v_accvgpr_read_b32 v8, a30
	s_ashr_i32 s29, s28, 31
	v_accvgpr_read_b32 v9, a31
	v_mul_lo_u32 v2, v8, s29
	v_mul_lo_u32 v3, v9, s28
	v_mad_u64_u32 v[4:5], s[28:29], v8, s28, 0
	v_add3_u32 v5, v5, v2, v3
	v_accvgpr_read_b32 v2, a32
	v_accvgpr_read_b32 v3, a33
	v_sub_co_u32_e32 v2, vcc, v2, v4
	v_subb_co_u32_e32 v3, vcc, v3, v5, vcc
	v_cmp_lt_i64_e32 vcc, v[8:9], v[2:3]
	v_cndmask_b32_e32 v3, v2, v8, vcc
	v_max_i32_e32 v18, 0, v3
	v_add_u32_e32 v2, 31, v18
	v_lshrrev_b32_e32 v2, 1, v2
	v_and_b32_e32 v2, 0x3ffffff0, v2
	v_cmp_lt_i32_e32 vcc, 0, v3
	v_max_i32_e32 v2, s81, v2
	s_and_b64 s[28:29], s[58:59], vcc
	v_mov_b32_e32 v3, 0
	v_mov_b32_e32 v8, 0
	s_and_saveexec_b64 s[30:31], s[28:29]
	s_cbranch_execz .LBB6_416
; %bb.272:                              ;   in Loop: Header=BB6_271 Depth=2
	s_mov_b32 s69, 1
	s_mov_b64 s[36:37], -1
	s_mov_b64 s[34:35], 0
	v_mov_b32_e32 v8, 0
	v_lshlrev_b64 v[10:11], 2, v[4:5]
	s_branch .LBB6_274
.LBB6_273:                              ;   in Loop: Header=BB6_274 Depth=3
	s_or_b64 exec, exec, s[28:29]
	v_add_u32_e32 v8, v2, v8
	v_cmp_ge_i32_e32 vcc, v8, v18
	s_xor_b64 s[28:29], s[36:37], -1
	s_or_b64 s[28:29], s[28:29], vcc
	s_and_b64 s[28:29], exec, s[28:29]
	s_or_b64 s[34:35], s[28:29], s[34:35]
	s_mov_b64 s[36:37], 0
	v_mov_b32_e32 v3, s69
	s_mov_b32 s69, 2
	s_andn2_b64 exec, exec, s[34:35]
	s_cbranch_execz .LBB6_417
.LBB6_274:                              ;   Parent Loop BB6_47 Depth=1
                                        ;     Parent Loop BB6_271 Depth=2
                                        ; =>    This Loop Header: Depth=3
                                        ;         Child Loop BB6_282 Depth 4
                                        ;         Child Loop BB6_310 Depth 4
                                        ;         Child Loop BB6_329 Depth 4
                                        ;         Child Loop BB6_363 Depth 4
                                        ;         Child Loop BB6_368 Depth 4
                                        ;         Child Loop BB6_349 Depth 4
                                        ;         Child Loop BB6_354 Depth 4
                                        ;         Child Loop BB6_382 Depth 4
                                        ;         Child Loop BB6_401 Depth 4
	s_and_saveexec_b64 s[28:29], s[4:5]
	s_cbranch_execz .LBB6_276
; %bb.275:                              ;   in Loop: Header=BB6_274 Depth=3
	s_trap 2
	ds_read_b64 v[4:5], v0
	v_accvgpr_read_b32 v12, a34
	v_accvgpr_read_b32 v13, a35
	v_lshlrev_b64 v[12:13], 2, v[12:13]
	v_ashrrev_i32_e32 v9, 31, v8
	s_waitcnt lgkmcnt(0)
	v_add_co_u32_e32 v3, vcc, v4, v12
	v_addc_co_u32_e32 v4, vcc, v5, v13, vcc
	v_add_co_u32_e32 v3, vcc, v3, v10
	v_addc_co_u32_e32 v12, vcc, v4, v11, vcc
	v_lshlrev_b64 v[4:5], 2, v[8:9]
	v_add_co_u32_e32 v4, vcc, v3, v4
	v_addc_co_u32_e32 v5, vcc, v12, v5, vcc
	v_mov_b32_e32 v53, v52
	ds_write_b64 v0, v[4:5]
	ds_write_b64 v0, v[52:53]
.LBB6_276:                              ;   in Loop: Header=BB6_274 Depth=3
	s_or_b64 exec, exec, s[28:29]
	v_and_b32_e32 v3, 12, v62
	v_cmp_ne_u32_e32 vcc, 0, v3
	s_mov_b64 s[38:39], -1
	s_and_saveexec_b64 s[28:29], vcc
	s_cbranch_execz .LBB6_288
; %bb.277:                              ;   in Loop: Header=BB6_274 Depth=3
	v_and_b32_e32 v4, 8, v62
	v_add_co_u32_e32 v14, vcc, v50, v4
	v_addc_co_u32_e32 v15, vcc, 0, v51, vcc
	v_add_co_u32_e32 v12, vcc, 2, v32
	v_addc_co_u32_e32 v13, vcc, 0, v33, vcc
	v_cmp_lt_u64_e32 vcc, v[14:15], v[12:13]
	v_mov_b32_e32 v3, 1
	s_and_saveexec_b64 s[38:39], vcc
	s_cbranch_execz .LBB6_287
; %bb.278:                              ;   in Loop: Header=BB6_274 Depth=3
	s_mov_b64 s[40:41], 0
	v_mov_b32_e32 v3, 0
                                        ; implicit-def: $sgpr42_sgpr43
	s_branch .LBB6_282
.LBB6_279:                              ;   in Loop: Header=BB6_282 Depth=4
	s_or_b64 exec, exec, s[64:65]
	v_mov_b32_e32 v5, 0
	s_orn2_b64 s[62:63], s[62:63], exec
.LBB6_280:                              ;   in Loop: Header=BB6_282 Depth=4
	s_or_b64 exec, exec, s[60:61]
	s_andn2_b64 vcc, s[42:43], exec
	s_and_b64 s[42:43], s[62:63], exec
	s_or_b64 s[42:43], vcc, s[42:43]
	v_mov_b32_e32 v3, v5
.LBB6_281:                              ;   in Loop: Header=BB6_282 Depth=4
	s_or_b64 exec, exec, s[44:45]
	s_waitcnt vmcnt(0) lgkmcnt(0)
	v_add_co_u32_e32 v14, vcc, v50, v4
	v_addc_co_u32_e32 v15, vcc, 0, v51, vcc
	v_cmp_ge_u64_e32 vcc, v[14:15], v[12:13]
	s_xor_b64 s[44:45], s[42:43], -1
	s_or_b64 vcc, s[44:45], vcc
	s_and_b64 vcc, exec, vcc
	s_or_b64 s[40:41], vcc, s[40:41]
	s_andn2_b64 exec, exec, s[40:41]
	s_cbranch_execz .LBB6_286
.LBB6_282:                              ;   Parent Loop BB6_47 Depth=1
                                        ;     Parent Loop BB6_271 Depth=2
                                        ;       Parent Loop BB6_274 Depth=3
                                        ; =>      This Inner Loop Header: Depth=4
	s_sleep 1
	flat_load_dwordx2 v[50:51], v[34:35] glc
	v_and_b32_e32 v5, 64, v62
	v_cmp_eq_u32_e32 vcc, 0, v5
	s_andn2_b64 s[42:43], s[42:43], exec
	s_and_saveexec_b64 s[44:45], vcc
	s_cbranch_execz .LBB6_281
; %bb.283:                              ;   in Loop: Header=BB6_282 Depth=4
	v_add_u32_e32 v5, 1, v3
	v_cmp_lt_i32_e32 vcc, s85, v3
	s_mov_b64 s[62:63], -1
	s_and_saveexec_b64 s[60:61], vcc
	s_cbranch_execz .LBB6_280
; %bb.284:                              ;   in Loop: Header=BB6_282 Depth=4
	s_trap 2
	ds_read_b64 v[14:15], v0
	s_waitcnt vmcnt(0) lgkmcnt(0)
	flat_load_dword v3, v[14:15] glc
	s_waitcnt vmcnt(0) lgkmcnt(0)
	buffer_invl2
	buffer_wbinvl1_vol
	v_cmp_ne_u32_e32 vcc, 0, v3
	s_and_saveexec_b64 s[64:65], vcc
	s_cbranch_execz .LBB6_279
; %bb.285:                              ;   in Loop: Header=BB6_282 Depth=4
	v_or_b32_e32 v62, 64, v62
	s_xor_b64 s[62:63], exec, -1
	ds_write_b32 v0, v3
	s_trap 2
	s_branch .LBB6_279
.LBB6_286:                              ;   in Loop: Header=BB6_274 Depth=3
	s_or_b64 exec, exec, s[40:41]
	v_and_b32_e32 v3, 12, v62
.LBB6_287:                              ;   in Loop: Header=BB6_274 Depth=3
	s_or_b64 exec, exec, s[38:39]
	v_cmp_eq_u32_e32 vcc, 0, v3
	s_orn2_b64 s[38:39], vcc, exec
	;;#ASMSTART
	s_wakeup
	;;#ASMEND
.LBB6_288:                              ;   in Loop: Header=BB6_274 Depth=3
	s_or_b64 exec, exec, s[28:29]
	v_sub_u32_e32 v3, v18, v8
	s_xor_b64 s[28:29], s[38:39], -1
	v_min_i32_e32 v2, v2, v3
	s_and_saveexec_b64 s[38:39], s[28:29]
	s_cbranch_execz .LBB6_302
; %bb.289:                              ;   in Loop: Header=BB6_274 Depth=3
	v_and_b32_e32 v3, 0x108, v62
	v_cmp_ne_u32_e32 vcc, s86, v3
	v_and_b32_e32 v4, 7, v32
	s_and_saveexec_b64 s[28:29], vcc
	s_xor_b64 s[28:29], exec, s[28:29]
                                        ; implicit-def: $vgpr12_vgpr13
; %bb.290:                              ;   in Loop: Header=BB6_274 Depth=3
	v_mov_b32_e32 v13, v52
; %bb.291:                              ;   in Loop: Header=BB6_274 Depth=3
	s_andn2_saveexec_b64 s[28:29], s[28:29]
	s_cbranch_execz .LBB6_293
; %bb.292:                              ;   in Loop: Header=BB6_274 Depth=3
	v_accvgpr_read_b32 v14, a24
	v_accvgpr_read_b32 v15, a25
	v_ashrrev_i32_e32 v3, 31, v2
	v_mov_b32_e32 v13, v52
	v_mad_u64_u32 v[14:15], vcc, v4, 24, v[14:15]
	v_lshlrev_b64 v[16:17], 2, v[2:3]
	flat_store_dwordx2 v[14:15], v[16:17] offset:8
.LBB6_293:                              ;   in Loop: Header=BB6_274 Depth=3
	s_or_b64 exec, exec, s[28:29]
	v_and_b32_e32 v3, 0x100, v62
	v_cmp_ne_u32_e32 vcc, 0, v3
	s_mov_b64 s[28:29], -1
                                        ; implicit-def: $vgpr14_vgpr15
	s_and_saveexec_b64 s[40:41], vcc
	s_cbranch_execz .LBB6_297
; %bb.294:                              ;   in Loop: Header=BB6_274 Depth=3
	v_accvgpr_read_b32 v14, a24
	v_accvgpr_read_b32 v15, a25
	v_mad_u64_u32 v[16:17], s[28:29], v4, 24, v[14:15]
	v_mov_b32_e32 v12, v17
	v_mad_u64_u32 v[14:15], s[28:29], v13, 24, v[12:13]
	v_mov_b32_e32 v17, v14
	flat_load_dword v3, v[16:17]
                                        ; implicit-def: $vgpr14_vgpr15
	s_waitcnt vmcnt(0) lgkmcnt(0)
	v_cmp_ne_u32_e32 vcc, 1, v3
	v_cmp_eq_u32_e64 s[28:29], 1, v3
	s_and_saveexec_b64 s[42:43], s[28:29]
	s_cbranch_execz .LBB6_296
; %bb.295:                              ;   in Loop: Header=BB6_274 Depth=3
	flat_load_dword v14, v[16:17] offset:4 glc
	s_waitcnt vmcnt(0) lgkmcnt(0)
	v_ashrrev_i32_e32 v15, 31, v14
	v_lshrrev_b64 v[14:15], 2, v[14:15]
.LBB6_296:                              ;   in Loop: Header=BB6_274 Depth=3
	s_or_b64 exec, exec, s[42:43]
	s_orn2_b64 s[28:29], vcc, exec
.LBB6_297:                              ;   in Loop: Header=BB6_274 Depth=3
	s_or_b64 exec, exec, s[40:41]
	s_and_saveexec_b64 vcc, s[28:29]
; %bb.298:                              ;   in Loop: Header=BB6_274 Depth=3
	v_mul_lo_u32 v3, v13, v30
	v_mul_lo_u32 v5, v4, v45
	v_mad_u64_u32 v[14:15], s[28:29], v4, v30, 0
	v_add3_u32 v15, v15, v5, v3
; %bb.299:                              ;   in Loop: Header=BB6_274 Depth=3
	s_or_b64 exec, exec, vcc
	v_lshlrev_b64 v[4:5], 2, v[14:15]
	v_add_co_u32_e32 v4, vcc, v36, v4
	v_addc_co_u32_e32 v5, vcc, v37, v5, vcc
	v_and_b32_e32 v3, 0x2000, v62
	v_cmp_ne_u32_e32 vcc, 0, v3
	s_trap 2
	ds_write_b64 v0, v[4:5]
	s_and_saveexec_b64 s[28:29], vcc
	s_cbranch_execz .LBB6_301
; %bb.300:                              ;   in Loop: Header=BB6_274 Depth=3
	ds_read_b64 v[4:5], v0 offset:584
	s_waitcnt lgkmcnt(0)
	v_add_co_u32_e32 v4, vcc, 1, v4
	v_addc_co_u32_e32 v5, vcc, 0, v5, vcc
	ds_write_b64 v0, v[4:5] offset:584
.LBB6_301:                              ;   in Loop: Header=BB6_274 Depth=3
	s_or_b64 exec, exec, s[28:29]
	v_add_co_u32_e32 v32, vcc, 2, v32
	v_addc_co_u32_e32 v33, vcc, 0, v33, vcc
.LBB6_302:                              ;   in Loop: Header=BB6_274 Depth=3
	s_or_b64 exec, exec, s[38:39]
	s_and_saveexec_b64 s[28:29], s[10:11]
	s_cbranch_execz .LBB6_321
; %bb.303:                              ;   in Loop: Header=BB6_274 Depth=3
	s_and_saveexec_b64 vcc, s[52:53]
	s_xor_b64 s[38:39], exec, vcc
	s_cbranch_execz .LBB6_318
; %bb.304:                              ;   in Loop: Header=BB6_274 Depth=3
	s_and_saveexec_b64 s[40:41], s[16:17]
	s_cbranch_execz .LBB6_317
; %bb.305:                              ;   in Loop: Header=BB6_274 Depth=3
	s_mov_b64 s[44:45], exec
	v_mbcnt_lo_u32_b32 v3, s44, 0
	v_mbcnt_hi_u32_b32 v3, s45, v3
	v_cmp_eq_u32_e32 vcc, 0, v3
	s_waitcnt vmcnt(0) lgkmcnt(0)
	buffer_wbinvl1_vol
	s_and_saveexec_b64 s[42:43], vcc
	s_cbranch_execz .LBB6_307
; %bb.306:                              ;   in Loop: Header=BB6_274 Depth=3
	s_bcnt1_i32_b64 vcc_lo, s[44:45]
	v_mov_b32_e32 v4, vcc_lo
	v_mov_b32_e32 v5, v52
	ds_add_u64 v0, v[4:5]
	s_trap 2
.LBB6_307:                              ;   in Loop: Header=BB6_274 Depth=3
	s_or_b64 exec, exec, s[42:43]
	s_trap 2
	ds_read_b64 v[4:5], v0
	v_add_co_u32_e32 v48, vcc, v48, v54
	v_addc_co_u32_e32 v49, vcc, 0, v49, vcc
	s_waitcnt lgkmcnt(0)
	v_cmp_lt_u64_e32 vcc, v[4:5], v[48:49]
	s_and_saveexec_b64 s[42:43], vcc
	s_cbranch_execz .LBB6_316
; %bb.308:                              ;   in Loop: Header=BB6_274 Depth=3
	s_mov_b32 s70, 0
	s_mov_b64 s[44:45], 0
                                        ; implicit-def: $sgpr60_sgpr61
                                        ; implicit-def: $sgpr62_sgpr63
	s_branch .LBB6_310
.LBB6_309:                              ;   in Loop: Header=BB6_310 Depth=4
	s_or_b64 exec, exec, s[66:67]
	s_and_b64 vcc, exec, vcc
	s_or_b64 s[44:45], vcc, s[44:45]
	s_andn2_b64 vcc, s[60:61], exec
	s_and_b64 s[60:61], s[62:63], exec
	s_or_b64 s[60:61], vcc, s[60:61]
	s_andn2_b64 exec, exec, s[44:45]
	s_cbranch_execz .LBB6_314
.LBB6_310:                              ;   Parent Loop BB6_47 Depth=1
                                        ;     Parent Loop BB6_271 Depth=2
                                        ;       Parent Loop BB6_274 Depth=3
                                        ; =>      This Inner Loop Header: Depth=4
	s_add_i32 s70, s70, 1
	s_cmpk_lg_i32 s70, 0x2710
	s_cselect_b64 s[64:65], -1, 0
	s_and_b64 vcc, exec, s[64:65]
                                        ; implicit-def: $sgpr66_sgpr67
	s_cbranch_vccnz .LBB6_312
; %bb.311:                              ;   in Loop: Header=BB6_310 Depth=4
	s_trap 2
	ds_read_b64 v[4:5], v0
	s_andn2_b64 s[64:65], s[64:65], exec
	s_mov_b32 s70, 0
	s_mov_b64 s[66:67], -1
	s_waitcnt lgkmcnt(0)
	flat_load_dword v3, v[4:5] glc
	s_waitcnt vmcnt(0) lgkmcnt(0)
	buffer_invl2
	buffer_wbinvl1_vol
	v_cmp_eq_u32_e32 vcc, 0, v3
	s_and_b64 vcc, vcc, exec
	s_or_b64 s[64:65], s[64:65], vcc
.LBB6_312:                              ;   in Loop: Header=BB6_310 Depth=4
	s_andn2_b64 s[62:63], s[62:63], exec
	s_and_b64 s[66:67], s[66:67], exec
	s_mov_b64 vcc, -1
	s_or_b64 s[62:63], s[62:63], s[66:67]
	s_and_saveexec_b64 s[66:67], s[64:65]
	s_cbranch_execz .LBB6_309
; %bb.313:                              ;   in Loop: Header=BB6_310 Depth=4
	s_sleep 1
	s_trap 2
	ds_read_b64 v[4:5], v0
	s_andn2_b64 s[62:63], s[62:63], exec
	s_waitcnt lgkmcnt(0)
	v_cmp_ge_u64_e32 vcc, v[4:5], v[48:49]
	s_orn2_b64 vcc, vcc, exec
	s_branch .LBB6_309
.LBB6_314:                              ;   in Loop: Header=BB6_274 Depth=3
	s_or_b64 exec, exec, s[44:45]
	s_and_saveexec_b64 vcc, s[60:61]
	s_xor_b64 vcc, exec, vcc
	s_cbranch_execz .LBB6_316
; %bb.315:                              ;   in Loop: Header=BB6_274 Depth=3
	ds_write_b32 v0, v57
	s_trap 2
.LBB6_316:                              ;   in Loop: Header=BB6_274 Depth=3
	s_or_b64 exec, exec, s[42:43]
	;;#ASMSTART
	s_wakeup
	;;#ASMEND
.LBB6_317:                              ;   in Loop: Header=BB6_274 Depth=3
	s_or_b64 exec, exec, s[40:41]
.LBB6_318:                              ;   in Loop: Header=BB6_274 Depth=3
	s_andn2_saveexec_b64 vcc, s[38:39]
	s_cbranch_execz .LBB6_320
; %bb.319:                              ;   in Loop: Header=BB6_274 Depth=3
	s_waitcnt vmcnt(0) lgkmcnt(0)
	buffer_wbinvl1_vol
	s_barrier
.LBB6_320:                              ;   in Loop: Header=BB6_274 Depth=3
	s_or_b64 exec, exec, vcc
.LBB6_321:                              ;   in Loop: Header=BB6_274 Depth=3
	s_or_b64 exec, exec, s[28:29]
	s_trap 2
	ds_read_b32 v4, v0
	v_and_b32_e32 v3, 0x4000, v62
	v_cmp_ne_u32_e32 vcc, 0, v3
	s_xor_b64 s[28:29], s[6:7], -1
	s_and_b64 vcc, s[28:29], vcc
	s_and_saveexec_b64 s[28:29], vcc
	s_cbranch_execz .LBB6_340
; %bb.322:                              ;   in Loop: Header=BB6_274 Depth=3
	s_and_saveexec_b64 vcc, s[52:53]
	s_xor_b64 s[38:39], exec, vcc
	s_cbranch_execz .LBB6_337
; %bb.323:                              ;   in Loop: Header=BB6_274 Depth=3
	s_and_saveexec_b64 s[40:41], s[16:17]
	s_cbranch_execz .LBB6_336
; %bb.324:                              ;   in Loop: Header=BB6_274 Depth=3
	s_mov_b64 s[44:45], exec
	v_mbcnt_lo_u32_b32 v3, s44, 0
	v_mbcnt_hi_u32_b32 v3, s45, v3
	v_cmp_eq_u32_e32 vcc, 0, v3
	s_waitcnt vmcnt(0) lgkmcnt(0)
	buffer_wbinvl1_vol
	s_and_saveexec_b64 s[42:43], vcc
	s_cbranch_execz .LBB6_326
; %bb.325:                              ;   in Loop: Header=BB6_274 Depth=3
	s_bcnt1_i32_b64 vcc_lo, s[44:45]
	v_mov_b32_e32 v12, vcc_lo
	v_mov_b32_e32 v13, v52
	ds_add_u64 v0, v[12:13]
	s_trap 2
.LBB6_326:                              ;   in Loop: Header=BB6_274 Depth=3
	s_or_b64 exec, exec, s[42:43]
	s_trap 2
	ds_read_b64 v[12:13], v0
	v_add_co_u32_e32 v48, vcc, v48, v54
	v_addc_co_u32_e32 v49, vcc, 0, v49, vcc
	s_waitcnt lgkmcnt(0)
	v_cmp_lt_u64_e32 vcc, v[12:13], v[48:49]
	s_and_saveexec_b64 s[42:43], vcc
	s_cbranch_execz .LBB6_335
; %bb.327:                              ;   in Loop: Header=BB6_274 Depth=3
	s_mov_b32 s70, 0
	s_mov_b64 s[44:45], 0
                                        ; implicit-def: $sgpr60_sgpr61
                                        ; implicit-def: $sgpr62_sgpr63
	s_branch .LBB6_329
.LBB6_328:                              ;   in Loop: Header=BB6_329 Depth=4
	s_or_b64 exec, exec, s[66:67]
	s_and_b64 vcc, exec, vcc
	s_or_b64 s[44:45], vcc, s[44:45]
	s_andn2_b64 vcc, s[60:61], exec
	s_and_b64 s[60:61], s[62:63], exec
	s_or_b64 s[60:61], vcc, s[60:61]
	s_andn2_b64 exec, exec, s[44:45]
	s_cbranch_execz .LBB6_333
.LBB6_329:                              ;   Parent Loop BB6_47 Depth=1
                                        ;     Parent Loop BB6_271 Depth=2
                                        ;       Parent Loop BB6_274 Depth=3
                                        ; =>      This Inner Loop Header: Depth=4
	s_add_i32 s70, s70, 1
	s_cmpk_lg_i32 s70, 0x2710
	s_cselect_b64 s[64:65], -1, 0
	s_and_b64 vcc, exec, s[64:65]
                                        ; implicit-def: $sgpr66_sgpr67
	s_cbranch_vccnz .LBB6_331
; %bb.330:                              ;   in Loop: Header=BB6_329 Depth=4
	s_trap 2
	ds_read_b64 v[12:13], v0
	s_andn2_b64 s[64:65], s[64:65], exec
	s_mov_b32 s70, 0
	s_mov_b64 s[66:67], -1
	s_waitcnt lgkmcnt(0)
	flat_load_dword v3, v[12:13] glc
	s_waitcnt vmcnt(0) lgkmcnt(0)
	buffer_invl2
	buffer_wbinvl1_vol
	v_cmp_eq_u32_e32 vcc, 0, v3
	s_and_b64 vcc, vcc, exec
	s_or_b64 s[64:65], s[64:65], vcc
.LBB6_331:                              ;   in Loop: Header=BB6_329 Depth=4
	s_andn2_b64 s[62:63], s[62:63], exec
	s_and_b64 s[66:67], s[66:67], exec
	s_mov_b64 vcc, -1
	s_or_b64 s[62:63], s[62:63], s[66:67]
	s_and_saveexec_b64 s[66:67], s[64:65]
	s_cbranch_execz .LBB6_328
; %bb.332:                              ;   in Loop: Header=BB6_329 Depth=4
	s_sleep 1
	s_trap 2
	ds_read_b64 v[12:13], v0
	s_andn2_b64 s[62:63], s[62:63], exec
	s_waitcnt lgkmcnt(0)
	v_cmp_ge_u64_e32 vcc, v[12:13], v[48:49]
	s_orn2_b64 vcc, vcc, exec
	s_branch .LBB6_328
.LBB6_333:                              ;   in Loop: Header=BB6_274 Depth=3
	s_or_b64 exec, exec, s[44:45]
	s_and_saveexec_b64 vcc, s[60:61]
	s_xor_b64 vcc, exec, vcc
	s_cbranch_execz .LBB6_335
; %bb.334:                              ;   in Loop: Header=BB6_274 Depth=3
	ds_write_b32 v0, v57
	s_trap 2
.LBB6_335:                              ;   in Loop: Header=BB6_274 Depth=3
	s_or_b64 exec, exec, s[42:43]
	;;#ASMSTART
	s_wakeup
	;;#ASMEND
.LBB6_336:                              ;   in Loop: Header=BB6_274 Depth=3
	s_or_b64 exec, exec, s[40:41]
.LBB6_337:                              ;   in Loop: Header=BB6_274 Depth=3
	s_andn2_saveexec_b64 vcc, s[38:39]
	s_cbranch_execz .LBB6_339
; %bb.338:                              ;   in Loop: Header=BB6_274 Depth=3
	s_waitcnt vmcnt(0) lgkmcnt(0)
	buffer_wbinvl1_vol
	s_barrier
.LBB6_339:                              ;   in Loop: Header=BB6_274 Depth=3
	s_or_b64 exec, exec, vcc
.LBB6_340:                              ;   in Loop: Header=BB6_274 Depth=3
	s_or_b64 exec, exec, s[28:29]
	s_trap 2
	ds_read_b64 v[12:13], v0
	v_mov_b32_e32 v3, 0
	s_waitcnt lgkmcnt(0)
	v_readfirstlane_b32 s28, v12
	v_readfirstlane_b32 s29, v13
	s_cmp_eq_u64 s[28:29], 0
	s_cselect_b64 s[28:29], -1, 0
	s_or_b64 s[28:29], s[28:29], s[28:29]
	s_and_b64 vcc, exec, s[28:29]
	s_cbranch_vccnz .LBB6_360
; %bb.341:                              ;   in Loop: Header=BB6_274 Depth=3
	s_mov_b64 s[28:29], -1
	s_and_saveexec_b64 s[38:39], s[24:25]
	s_cbranch_execz .LBB6_343
; %bb.342:                              ;   in Loop: Header=BB6_274 Depth=3
	ds_read_b32 v3, v0 offset:720
	s_waitcnt lgkmcnt(0)
	v_and_b32_e32 v3, 15, v3
	v_cmp_eq_u32_e32 vcc, 0, v3
	s_orn2_b64 s[28:29], vcc, exec
.LBB6_343:                              ;   in Loop: Header=BB6_274 Depth=3
	s_or_b64 exec, exec, s[38:39]
	s_and_saveexec_b64 s[38:39], s[20:21]
	s_cbranch_execz .LBB6_345
; %bb.344:                              ;   in Loop: Header=BB6_274 Depth=3
	ds_read_b32 v3, v0 offset:784
	s_waitcnt lgkmcnt(0)
	v_and_b32_e32 v3, 15, v3
	v_cmp_eq_u32_e32 vcc, 0, v3
	s_and_b64 vcc, s[28:29], vcc
	s_andn2_b64 s[28:29], s[28:29], exec
	s_and_b64 vcc, vcc, exec
	s_or_b64 s[28:29], s[28:29], vcc
.LBB6_345:                              ;   in Loop: Header=BB6_274 Depth=3
	s_or_b64 exec, exec, s[38:39]
	v_cmp_eq_u32_e32 vcc, 0, v4
	s_xor_b64 s[28:29], s[28:29], -1
	v_cndmask_b32_e32 v3, 0, v2, vcc
	v_cndmask_b32_e64 v4, 0, 1, s[28:29]
	v_mov_b32_e32 v16, 0
	v_lshlrev_b32_e32 v9, 2, v3
	s_mov_b64 s[40:41], -1
	;;#ASMSTART
	;;#ASMEND
	v_cmp_ne_u32_e32 vcc, 0, v4
	s_cbranch_vccz .LBB6_361
; %bb.346:                              ;   in Loop: Header=BB6_274 Depth=3
	v_mov_b32_e32 v17, v58
	v_mov_b32_e32 v4, v59
	s_and_saveexec_b64 s[28:29], s[40:41]
	s_cbranch_execz .LBB6_374
.LBB6_347:                              ;   in Loop: Header=BB6_274 Depth=3
	v_ashrrev_i32_e32 v5, 31, v9
	v_lshrrev_b32_e32 v5, 22, v5
	v_add_u32_e32 v5, v9, v5
	s_waitcnt vmcnt(0)
	v_ashrrev_i32_e32 v21, 10, v5
	v_sub_u32_e32 v19, v21, v4
	v_ashrrev_i32_e32 v5, 31, v17
	v_cmp_lt_i32_e32 vcc, 0, v19
	v_lshrrev_b32_e32 v20, 26, v5
	s_and_saveexec_b64 s[38:39], vcc
	s_cbranch_execz .LBB6_351
; %bb.348:                              ;   in Loop: Header=BB6_274 Depth=3
	s_trap 2
	v_add_u32_e32 v5, v17, v20
	ds_read_b128 v[12:15], v0
	ds_read_b64 v[22:23], v0
	v_and_b32_e32 v5, 0x3fffffc0, v5
	v_sub_u32_e32 v5, v17, v5
	v_lshlrev_b32_e32 v5, 2, v5
	v_lshlrev_b32_e32 v4, 10, v4
	v_add3_u32 v24, v5, v16, v4
	v_ashrrev_i32_e32 v25, 31, v24
	s_waitcnt lgkmcnt(1)
	v_add_co_u32_e32 v4, vcc, v12, v24
	v_addc_co_u32_e32 v5, vcc, v13, v25, vcc
	v_add_co_u32_e32 v12, vcc, v14, v24
	v_addc_co_u32_e32 v13, vcc, v15, v25, vcc
	s_waitcnt lgkmcnt(0)
	v_add_co_u32_e32 v14, vcc, v22, v24
	v_addc_co_u32_e32 v15, vcc, v23, v25, vcc
	s_mov_b64 s[40:41], 0
.LBB6_349:                              ;   Parent Loop BB6_47 Depth=1
                                        ;     Parent Loop BB6_271 Depth=2
                                        ;       Parent Loop BB6_274 Depth=3
                                        ; =>      This Inner Loop Header: Depth=4
	flat_load_dword v22, v[4:5] glc slc
	flat_load_dword v23, v[4:5] offset:256 glc slc
	flat_load_dword v24, v[4:5] offset:512 glc slc
	;; [unrolled: 1-line block ×3, first 2 shown]
	flat_load_dword v26, v[12:13] glc slc
	flat_load_dword v27, v[12:13] offset:256 glc slc
	flat_load_dword v38, v[12:13] offset:512 glc slc
	;; [unrolled: 1-line block ×3, first 2 shown]
	v_add_co_u32_e32 v4, vcc, v4, v1
	v_addc_co_u32_e32 v5, vcc, v5, v0, vcc
	v_add_co_u32_e32 v12, vcc, v12, v1
	v_addc_co_u32_e32 v13, vcc, v13, v0, vcc
	v_sub_u32_e32 v19, v19, v54
	v_cmp_gt_i32_e32 vcc, 1, v19
	s_or_b64 s[40:41], vcc, s[40:41]
	s_waitcnt vmcnt(0) lgkmcnt(0)
	v_add_u32_e32 v22, v26, v22
	v_add_u32_e32 v23, v27, v23
	;; [unrolled: 1-line block ×4, first 2 shown]
	flat_store_dword v[14:15], v22 glc slc
	flat_store_dword v[14:15], v23 offset:256 glc slc
	flat_store_dword v[14:15], v24 offset:512 glc slc
	;; [unrolled: 1-line block ×3, first 2 shown]
	v_add_co_u32_e32 v14, vcc, v14, v1
	v_addc_co_u32_e32 v15, vcc, v15, v0, vcc
	s_andn2_b64 exec, exec, s[40:41]
	s_cbranch_execnz .LBB6_349
; %bb.350:                              ;   in Loop: Header=BB6_274 Depth=3
	s_or_b64 exec, exec, s[40:41]
	v_accvgpr_read_b32 v26, a18
	v_accvgpr_read_b32 v39, a23
.LBB6_351:                              ;   in Loop: Header=BB6_274 Depth=3
	s_or_b64 exec, exec, s[38:39]
	v_lshlrev_b32_e32 v4, 10, v21
	v_cmp_ne_u32_e32 vcc, v9, v4
	s_and_saveexec_b64 s[38:39], vcc
	s_cbranch_execz .LBB6_355
; %bb.352:                              ;   in Loop: Header=BB6_274 Depth=3
	v_add_u32_e32 v5, v17, v20
	v_and_b32_e32 v5, 0xffffffc0, v5
	v_sub_u32_e32 v5, v17, v5
	v_lshlrev_b32_e32 v12, 6, v19
	v_sub_u32_e32 v5, v5, v12
	v_ashrrev_i32_e32 v12, 31, v5
	v_lshrrev_b32_e32 v12, 26, v12
	v_add_u32_e32 v12, v5, v12
	v_and_b32_e32 v13, 0x3fffffc0, v12
	v_sub_u32_e32 v5, v5, v13
	v_lshlrev_b32_e32 v12, 2, v12
	v_and_b32_e32 v12, 0xffffff00, v12
	v_lshlrev_b32_e32 v5, 2, v5
	v_add3_u32 v4, v12, v5, v4
	v_sub_u32_e32 v9, v9, v4
	v_cmp_lt_i32_e32 vcc, 3, v9
	s_and_b64 exec, exec, vcc
	s_cbranch_execz .LBB6_355
; %bb.353:                              ;   in Loop: Header=BB6_274 Depth=3
	s_trap 2
	ds_read_b128 v[12:15], v0
	v_add_u32_e32 v19, v4, v16
	ds_read_b64 v[16:17], v0
	v_ashrrev_i32_e32 v20, 31, v19
	s_mov_b64 s[40:41], 0
	s_waitcnt lgkmcnt(0)
	v_add_co_u32_e32 v4, vcc, v12, v19
	v_addc_co_u32_e32 v5, vcc, v13, v20, vcc
	v_add_co_u32_e32 v12, vcc, v14, v19
	v_addc_co_u32_e32 v13, vcc, v15, v20, vcc
	v_add_co_u32_e32 v14, vcc, v16, v19
	v_addc_co_u32_e32 v15, vcc, v17, v20, vcc
.LBB6_354:                              ;   Parent Loop BB6_47 Depth=1
                                        ;     Parent Loop BB6_271 Depth=2
                                        ;       Parent Loop BB6_274 Depth=3
                                        ; =>      This Inner Loop Header: Depth=4
	flat_load_dword v16, v[4:5] glc slc
	flat_load_dword v17, v[12:13] glc slc
	v_add_co_u32_e32 v4, vcc, v4, v43
	v_addc_co_u32_e32 v5, vcc, v5, v61, vcc
	v_add_co_u32_e32 v12, vcc, v12, v43
	v_addc_co_u32_e32 v13, vcc, v13, v61, vcc
	v_sub_u32_e32 v9, v9, v60
	v_cmp_gt_i32_e32 vcc, 4, v9
	s_or_b64 s[40:41], vcc, s[40:41]
	s_waitcnt vmcnt(0) lgkmcnt(0)
	v_add_u32_e32 v16, v17, v16
	flat_store_dword v[14:15], v16 glc slc
	v_add_co_u32_e32 v14, vcc, v14, v43
	v_addc_co_u32_e32 v15, vcc, v15, v61, vcc
	s_andn2_b64 exec, exec, s[40:41]
	s_cbranch_execnz .LBB6_354
.LBB6_355:                              ;   in Loop: Header=BB6_274 Depth=3
	s_or_b64 exec, exec, s[38:39]
	buffer_load_dword v20, off, s[0:3], s33 offset:92 ; 4-byte Folded Reload
	buffer_load_dword v21, off, s[0:3], s33 offset:96 ; 4-byte Folded Reload
	s_or_b64 exec, exec, s[28:29]
	s_and_saveexec_b64 s[28:29], s[10:11]
	s_cbranch_execnz .LBB6_375
.LBB6_356:                              ;   in Loop: Header=BB6_274 Depth=3
	s_or_b64 exec, exec, s[28:29]
                                        ; implicit-def: $vgpr4
	s_and_saveexec_b64 s[28:29], s[22:23]
	s_xor_b64 s[38:39], exec, s[28:29]
	s_cbranch_execz .LBB6_393
.LBB6_357:                              ;   in Loop: Header=BB6_274 Depth=3
	v_cmp_lt_i32_e32 vcc, 0, v3
	v_and_b32_e32 v3, 16, v62
	v_cmp_ne_u32_e64 s[28:29], 0, v3
	v_and_b32_e32 v4, 16, v62
	s_and_b64 vcc, s[28:29], vcc
	s_and_saveexec_b64 s[28:29], vcc
	s_cbranch_execz .LBB6_359
; %bb.358:                              ;   in Loop: Header=BB6_274 Depth=3
	v_mov_b32_e32 v4, 1
	s_waitcnt vmcnt(0) lgkmcnt(0)
	buffer_wbinvl1_vol
.LBB6_359:                              ;   in Loop: Header=BB6_274 Depth=3
	s_or_b64 exec, exec, s[28:29]
	s_andn2_saveexec_b64 s[28:29], s[38:39]
	s_cbranch_execz .LBB6_412
	s_branch .LBB6_394
.LBB6_360:                              ;   in Loop: Header=BB6_274 Depth=3
	s_and_saveexec_b64 s[28:29], s[10:11]
	s_cbranch_execnz .LBB6_375
	s_branch .LBB6_356
.LBB6_361:                              ;   in Loop: Header=BB6_274 Depth=3
	v_ashrrev_i32_e32 v4, 31, v9
	v_lshrrev_b32_e32 v4, 21, v4
	v_add_u32_e32 v4, v9, v4
	v_ashrrev_i32_e32 v16, 11, v4
	s_waitcnt vmcnt(0)
	v_sub_u32_e32 v20, v16, v59
	v_cmp_lt_i32_e32 vcc, 0, v20
	s_and_saveexec_b64 s[28:29], vcc
	s_cbranch_execz .LBB6_365
; %bb.362:                              ;   in Loop: Header=BB6_274 Depth=3
	s_trap 2
	ds_read_b128 v[12:15], v0
	ds_read_b64 v[22:23], v0
	v_accvgpr_read_b32 v17, a27
	s_mov_b64 s[38:39], 0
	s_waitcnt lgkmcnt(1)
	v_add_co_u32_e32 v4, vcc, v12, v6
	v_addc_co_u32_e32 v5, vcc, v13, v17, vcc
	v_add_co_u32_e32 v12, vcc, v14, v6
	v_addc_co_u32_e32 v13, vcc, v15, v17, vcc
	s_waitcnt lgkmcnt(0)
	v_add_co_u32_e32 v14, vcc, v22, v6
	v_addc_co_u32_e32 v15, vcc, v23, v17, vcc
.LBB6_363:                              ;   Parent Loop BB6_47 Depth=1
                                        ;     Parent Loop BB6_271 Depth=2
                                        ;       Parent Loop BB6_274 Depth=3
                                        ; =>      This Inner Loop Header: Depth=4
	global_load_dwordx4 v[22:25], v[12:13], off glc slc
	global_load_dwordx4 v[44:47], v[4:5], off glc slc
	global_load_dwordx4 v[56:59], v[4:5], off offset:1024 glc slc
	global_load_dwordx4 v[38:41], v[12:13], off offset:1024 glc slc
	v_add_co_u32_e32 v4, vcc, v4, v42
	v_addc_co_u32_e32 v5, vcc, v5, v31, vcc
	v_add_co_u32_e32 v12, vcc, v12, v42
	v_addc_co_u32_e32 v13, vcc, v13, v31, vcc
	v_sub_u32_e32 v20, v20, v54
	v_cmp_gt_i32_e32 vcc, 1, v20
	s_or_b64 s[38:39], vcc, s[38:39]
	s_waitcnt vmcnt(2)
	v_add_co_u32_e32 v17, vcc, 0, v44
	v_addc_co_u32_e32 v23, vcc, v23, v45, vcc
	v_add_co_u32_e32 v17, vcc, 0, v46
	v_addc_co_u32_e32 v25, vcc, v25, v47, vcc
	s_waitcnt vmcnt(1)
	v_add_co_u32_e32 v17, vcc, 0, v56
	s_waitcnt vmcnt(0)
	v_addc_co_u32_e32 v39, vcc, v39, v57, vcc
	v_add_co_u32_e32 v17, vcc, 0, v58
	v_add_u32_e32 v22, v22, v44
	v_add_u32_e32 v24, v24, v46
	v_addc_co_u32_e32 v41, vcc, v41, v59, vcc
	v_add_u32_e32 v38, v38, v56
	v_add_u32_e32 v40, v40, v58
	global_store_dwordx4 v[14:15], v[22:25], off glc slc
	global_store_dwordx4 v[14:15], v[38:41], off offset:1024 glc slc
	v_add_co_u32_e32 v14, vcc, v14, v42
	v_addc_co_u32_e32 v15, vcc, v15, v31, vcc
	s_andn2_b64 exec, exec, s[38:39]
	s_cbranch_execnz .LBB6_363
; %bb.364:                              ;   in Loop: Header=BB6_274 Depth=3
	s_or_b64 exec, exec, s[38:39]
	v_accvgpr_read_b32 v47, a13
	v_accvgpr_read_b32 v58, a3
	;; [unrolled: 1-line block ×7, first 2 shown]
	v_mov_b32_e32 v57, 1
.LBB6_365:                              ;   in Loop: Header=BB6_274 Depth=3
	s_or_b64 exec, exec, s[28:29]
	v_lshlrev_b32_e32 v19, 11, v16
	v_cmp_ne_u32_e32 vcc, v9, v19
	s_mov_b64 s[40:41], 0
	v_mov_b32_e32 v16, 0
                                        ; implicit-def: $vgpr17
                                        ; implicit-def: $vgpr4
	s_and_saveexec_b64 s[38:39], vcc
	s_cbranch_execz .LBB6_373
; %bb.366:                              ;   in Loop: Header=BB6_274 Depth=3
	v_lshlrev_b32_e32 v4, 6, v20
	v_accvgpr_read_b32 v12, a20
	v_sub_u32_e32 v4, v12, v4
	v_ashrrev_i32_e32 v12, 31, v4
	v_lshrrev_b32_e32 v12, 26, v12
	v_add_u32_e32 v12, v4, v12
	v_sub_u32_e32 v5, v9, v19
	v_ashrrev_i32_e32 v13, 6, v12
	v_and_b32_e32 v12, 0xffffffc0, v12
	v_sub_u32_e32 v20, v4, v12
	v_ashrrev_i32_e32 v12, 31, v5
	v_lshrrev_b32_e32 v12, 22, v12
	v_add_u32_e32 v12, v5, v12
	v_and_b32_e32 v21, 0xfffffc00, v12
	v_lshlrev_b32_e32 v4, 4, v20
	v_sub_u32_e32 v23, v5, v21
	v_lshl_add_u32 v4, v13, 10, v4
	v_ashrrev_i32_e32 v14, 10, v12
	v_cmp_lt_i32_e32 vcc, 15, v23
	v_sub_u32_e32 v16, v5, v4
	v_addc_co_u32_e64 v5, s[28:29], 0, v14, vcc
	v_sub_u32_e32 v22, v5, v13
	v_cmp_lt_i32_e64 s[28:29], 15, v16
	s_and_saveexec_b64 s[40:41], s[28:29]
	s_cbranch_execz .LBB6_370
; %bb.367:                              ;   in Loop: Header=BB6_274 Depth=3
	s_trap 2
	ds_read_b128 v[12:15], v0
	ds_read_b64 v[24:25], v0
	v_add_u32_e32 v17, v4, v19
	v_ashrrev_i32_e32 v26, 31, v17
	s_mov_b64 s[42:43], 0
	s_waitcnt lgkmcnt(1)
	v_add_co_u32_e64 v4, s[28:29], v12, v17
	v_addc_co_u32_e64 v5, s[28:29], v13, v26, s[28:29]
	v_add_co_u32_e64 v12, s[28:29], v14, v17
	v_addc_co_u32_e64 v13, s[28:29], v15, v26, s[28:29]
	s_waitcnt lgkmcnt(0)
	v_add_co_u32_e64 v14, s[28:29], v24, v17
	v_addc_co_u32_e64 v15, s[28:29], v25, v26, s[28:29]
.LBB6_368:                              ;   Parent Loop BB6_47 Depth=1
                                        ;     Parent Loop BB6_271 Depth=2
                                        ;       Parent Loop BB6_274 Depth=3
                                        ; =>      This Inner Loop Header: Depth=4
	global_load_dwordx4 v[24:27], v[4:5], off glc slc
	global_load_dwordx4 v[38:41], v[12:13], off glc slc
	v_add_co_u32_e64 v4, s[28:29], v4, v1
	v_addc_co_u32_e64 v5, s[28:29], v5, v0, s[28:29]
	v_add_co_u32_e64 v12, s[28:29], v12, v1
	v_addc_co_u32_e64 v13, s[28:29], v13, v0, s[28:29]
	v_sub_u32_e32 v16, v16, v55
	v_cmp_gt_i32_e64 s[28:29], 16, v16
	s_or_b64 s[42:43], s[28:29], s[42:43]
	v_sub_u32_e32 v22, v22, v54
	s_waitcnt vmcnt(1)
	v_add_co_u32_e64 v17, s[28:29], 0, v24
	s_waitcnt vmcnt(0)
	v_addc_co_u32_e64 v39, s[28:29], v39, v25, s[28:29]
	v_add_co_u32_e64 v17, s[28:29], 0, v26
	v_add_u32_e32 v38, v38, v24
	v_add_u32_e32 v40, v40, v26
	v_addc_co_u32_e64 v41, s[28:29], v41, v27, s[28:29]
	global_store_dwordx4 v[14:15], v[38:41], off glc slc
	v_add_co_u32_e64 v14, s[28:29], v14, v1
	v_addc_co_u32_e64 v15, s[28:29], v15, v0, s[28:29]
	s_andn2_b64 exec, exec, s[42:43]
	s_cbranch_execnz .LBB6_368
; %bb.369:                              ;   in Loop: Header=BB6_274 Depth=3
	s_or_b64 exec, exec, s[42:43]
	v_accvgpr_read_b32 v40, a14
	v_accvgpr_read_b32 v26, a18
	;; [unrolled: 1-line block ×3, first 2 shown]
.LBB6_370:                              ;   in Loop: Header=BB6_274 Depth=3
	s_or_b64 exec, exec, s[40:41]
	v_and_b32_e32 v5, 12, v9
	v_cndmask_b32_e32 v9, v23, v5, vcc
	v_cmp_ne_u32_e64 s[28:29], 0, v9
	s_mov_b64 s[40:41], 0
	v_mov_b32_e32 v16, 0
                                        ; implicit-def: $vgpr17
                                        ; implicit-def: $vgpr4
	s_and_saveexec_b64 s[42:43], s[28:29]
	s_cbranch_execz .LBB6_372
; %bb.371:                              ;   in Loop: Header=BB6_274 Depth=3
	v_sub_u32_e32 v4, v23, v5
	v_cndmask_b32_e32 v4, 0, v4, vcc
	v_cmp_lt_i32_e32 vcc, 0, v22
	v_add3_u32 v16, v21, v19, v4
	v_cndmask_b32_e32 v4, 0, v54, vcc
	v_sub_u32_e32 v4, v4, v22
	v_lshl_add_u32 v17, v4, 6, v20
	v_ashrrev_i32_e32 v4, 31, v17
	v_lshrrev_b32_e32 v4, 26, v4
	v_add_u32_e32 v4, v17, v4
	s_mov_b64 s[40:41], exec
	v_ashrrev_i32_e32 v4, 6, v4
.LBB6_372:                              ;   in Loop: Header=BB6_274 Depth=3
	s_or_b64 exec, exec, s[42:43]
	s_and_b64 s[40:41], s[40:41], exec
.LBB6_373:                              ;   in Loop: Header=BB6_274 Depth=3
	s_or_b64 exec, exec, s[38:39]
	buffer_load_dword v20, off, s[0:3], s33 offset:92 ; 4-byte Folded Reload
	buffer_load_dword v21, off, s[0:3], s33 offset:96 ; 4-byte Folded Reload
	s_and_saveexec_b64 s[28:29], s[40:41]
	s_cbranch_execnz .LBB6_347
.LBB6_374:                              ;   in Loop: Header=BB6_274 Depth=3
	s_or_b64 exec, exec, s[28:29]
	s_and_saveexec_b64 s[28:29], s[10:11]
	s_cbranch_execz .LBB6_356
.LBB6_375:                              ;   in Loop: Header=BB6_274 Depth=3
	s_and_saveexec_b64 vcc, s[52:53]
	s_xor_b64 s[38:39], exec, vcc
	s_cbranch_execz .LBB6_390
; %bb.376:                              ;   in Loop: Header=BB6_274 Depth=3
	s_and_saveexec_b64 s[40:41], s[16:17]
	s_cbranch_execz .LBB6_389
; %bb.377:                              ;   in Loop: Header=BB6_274 Depth=3
	s_mov_b64 s[44:45], exec
	v_mbcnt_lo_u32_b32 v4, s44, 0
	v_mbcnt_hi_u32_b32 v4, s45, v4
	v_cmp_eq_u32_e32 vcc, 0, v4
	s_waitcnt vmcnt(0) lgkmcnt(0)
	buffer_wbinvl1_vol
	s_and_saveexec_b64 s[42:43], vcc
	s_cbranch_execz .LBB6_379
; %bb.378:                              ;   in Loop: Header=BB6_274 Depth=3
	s_bcnt1_i32_b64 vcc_lo, s[44:45]
	v_mov_b32_e32 v4, vcc_lo
	v_mov_b32_e32 v5, v52
	ds_add_u64 v0, v[4:5]
	s_trap 2
.LBB6_379:                              ;   in Loop: Header=BB6_274 Depth=3
	s_or_b64 exec, exec, s[42:43]
	s_trap 2
	ds_read_b64 v[4:5], v0
	v_add_co_u32_e32 v48, vcc, v48, v54
	v_addc_co_u32_e32 v49, vcc, 0, v49, vcc
	s_waitcnt lgkmcnt(0)
	v_cmp_lt_u64_e32 vcc, v[4:5], v[48:49]
	s_and_saveexec_b64 s[42:43], vcc
	s_cbranch_execz .LBB6_388
; %bb.380:                              ;   in Loop: Header=BB6_274 Depth=3
	s_mov_b32 s70, 0
	s_mov_b64 s[44:45], 0
                                        ; implicit-def: $sgpr60_sgpr61
                                        ; implicit-def: $sgpr62_sgpr63
	s_branch .LBB6_382
.LBB6_381:                              ;   in Loop: Header=BB6_382 Depth=4
	s_or_b64 exec, exec, s[66:67]
	s_and_b64 vcc, exec, vcc
	s_or_b64 s[44:45], vcc, s[44:45]
	s_andn2_b64 vcc, s[60:61], exec
	s_and_b64 s[60:61], s[62:63], exec
	s_or_b64 s[60:61], vcc, s[60:61]
	s_andn2_b64 exec, exec, s[44:45]
	s_cbranch_execz .LBB6_386
.LBB6_382:                              ;   Parent Loop BB6_47 Depth=1
                                        ;     Parent Loop BB6_271 Depth=2
                                        ;       Parent Loop BB6_274 Depth=3
                                        ; =>      This Inner Loop Header: Depth=4
	s_add_i32 s70, s70, 1
	s_cmpk_lg_i32 s70, 0x2710
	s_cselect_b64 s[64:65], -1, 0
	s_and_b64 vcc, exec, s[64:65]
                                        ; implicit-def: $sgpr66_sgpr67
	s_cbranch_vccnz .LBB6_384
; %bb.383:                              ;   in Loop: Header=BB6_382 Depth=4
	s_trap 2
	ds_read_b64 v[4:5], v0
	s_andn2_b64 s[64:65], s[64:65], exec
	s_mov_b32 s70, 0
	s_mov_b64 s[66:67], -1
	s_waitcnt lgkmcnt(0)
	flat_load_dword v4, v[4:5] glc
	s_waitcnt vmcnt(0) lgkmcnt(0)
	buffer_invl2
	buffer_wbinvl1_vol
	v_cmp_eq_u32_e32 vcc, 0, v4
	s_and_b64 vcc, vcc, exec
	s_or_b64 s[64:65], s[64:65], vcc
.LBB6_384:                              ;   in Loop: Header=BB6_382 Depth=4
	s_andn2_b64 s[62:63], s[62:63], exec
	s_and_b64 s[66:67], s[66:67], exec
	s_mov_b64 vcc, -1
	s_or_b64 s[62:63], s[62:63], s[66:67]
	s_and_saveexec_b64 s[66:67], s[64:65]
	s_cbranch_execz .LBB6_381
; %bb.385:                              ;   in Loop: Header=BB6_382 Depth=4
	s_sleep 1
	s_trap 2
	ds_read_b64 v[4:5], v0
	s_andn2_b64 s[62:63], s[62:63], exec
	s_waitcnt lgkmcnt(0)
	v_cmp_ge_u64_e32 vcc, v[4:5], v[48:49]
	s_orn2_b64 vcc, vcc, exec
	s_branch .LBB6_381
.LBB6_386:                              ;   in Loop: Header=BB6_274 Depth=3
	s_or_b64 exec, exec, s[44:45]
	s_and_saveexec_b64 vcc, s[60:61]
	s_xor_b64 vcc, exec, vcc
	s_cbranch_execz .LBB6_388
; %bb.387:                              ;   in Loop: Header=BB6_274 Depth=3
	ds_write_b32 v0, v57
	s_trap 2
.LBB6_388:                              ;   in Loop: Header=BB6_274 Depth=3
	s_or_b64 exec, exec, s[42:43]
	;;#ASMSTART
	s_wakeup
	;;#ASMEND
.LBB6_389:                              ;   in Loop: Header=BB6_274 Depth=3
	s_or_b64 exec, exec, s[40:41]
.LBB6_390:                              ;   in Loop: Header=BB6_274 Depth=3
	s_andn2_saveexec_b64 vcc, s[38:39]
	s_cbranch_execz .LBB6_392
; %bb.391:                              ;   in Loop: Header=BB6_274 Depth=3
	s_waitcnt vmcnt(0) lgkmcnt(0)
	buffer_wbinvl1_vol
	s_barrier
.LBB6_392:                              ;   in Loop: Header=BB6_274 Depth=3
	s_or_b64 exec, exec, vcc
	s_or_b64 exec, exec, s[28:29]
                                        ; implicit-def: $vgpr4
	s_and_saveexec_b64 s[28:29], s[22:23]
	s_xor_b64 s[38:39], exec, s[28:29]
	s_cbranch_execnz .LBB6_357
.LBB6_393:                              ;   in Loop: Header=BB6_274 Depth=3
	s_andn2_saveexec_b64 s[28:29], s[38:39]
	s_cbranch_execz .LBB6_412
.LBB6_394:                              ;   in Loop: Header=BB6_274 Depth=3
	s_and_saveexec_b64 vcc, s[52:53]
	s_xor_b64 s[38:39], exec, vcc
	s_cbranch_execz .LBB6_409
; %bb.395:                              ;   in Loop: Header=BB6_274 Depth=3
	s_and_saveexec_b64 s[40:41], s[16:17]
	s_cbranch_execz .LBB6_408
; %bb.396:                              ;   in Loop: Header=BB6_274 Depth=3
	s_mov_b64 s[44:45], exec
	v_mbcnt_lo_u32_b32 v3, s44, 0
	v_mbcnt_hi_u32_b32 v3, s45, v3
	v_cmp_eq_u32_e32 vcc, 0, v3
	;;#ASMSTART
	s_waitcnt lgkmcnt(0) vmcnt(0)
	;;#ASMEND
	s_and_saveexec_b64 s[42:43], vcc
	s_cbranch_execz .LBB6_398
; %bb.397:                              ;   in Loop: Header=BB6_274 Depth=3
	s_bcnt1_i32_b64 vcc_lo, s[44:45]
	v_mov_b32_e32 v4, vcc_lo
	v_mov_b32_e32 v5, v52
	ds_add_u64 v0, v[4:5]
	s_trap 2
.LBB6_398:                              ;   in Loop: Header=BB6_274 Depth=3
	s_or_b64 exec, exec, s[42:43]
	s_trap 2
	ds_read_b64 v[4:5], v0
	v_add_co_u32_e32 v48, vcc, v48, v54
	v_addc_co_u32_e32 v49, vcc, 0, v49, vcc
	s_waitcnt lgkmcnt(0)
	v_cmp_lt_u64_e32 vcc, v[4:5], v[48:49]
	s_and_saveexec_b64 s[42:43], vcc
	s_cbranch_execz .LBB6_407
; %bb.399:                              ;   in Loop: Header=BB6_274 Depth=3
	s_mov_b32 s70, 0
	s_mov_b64 s[44:45], 0
                                        ; implicit-def: $sgpr60_sgpr61
                                        ; implicit-def: $sgpr62_sgpr63
	s_branch .LBB6_401
.LBB6_400:                              ;   in Loop: Header=BB6_401 Depth=4
	s_or_b64 exec, exec, s[66:67]
	s_and_b64 vcc, exec, vcc
	s_or_b64 s[44:45], vcc, s[44:45]
	s_andn2_b64 vcc, s[60:61], exec
	s_and_b64 s[60:61], s[62:63], exec
	s_or_b64 s[60:61], vcc, s[60:61]
	s_andn2_b64 exec, exec, s[44:45]
	s_cbranch_execz .LBB6_405
.LBB6_401:                              ;   Parent Loop BB6_47 Depth=1
                                        ;     Parent Loop BB6_271 Depth=2
                                        ;       Parent Loop BB6_274 Depth=3
                                        ; =>      This Inner Loop Header: Depth=4
	s_add_i32 s70, s70, 1
	s_cmpk_lg_i32 s70, 0x2710
	s_cselect_b64 s[64:65], -1, 0
	s_and_b64 vcc, exec, s[64:65]
                                        ; implicit-def: $sgpr66_sgpr67
	s_cbranch_vccnz .LBB6_403
; %bb.402:                              ;   in Loop: Header=BB6_401 Depth=4
	s_trap 2
	ds_read_b64 v[4:5], v0
	s_andn2_b64 s[64:65], s[64:65], exec
	s_mov_b32 s70, 0
	s_mov_b64 s[66:67], -1
	s_waitcnt vmcnt(0) lgkmcnt(0)
	flat_load_dword v3, v[4:5] glc
	s_waitcnt vmcnt(0) lgkmcnt(0)
	buffer_invl2
	buffer_wbinvl1_vol
	v_cmp_eq_u32_e32 vcc, 0, v3
	s_and_b64 vcc, vcc, exec
	s_or_b64 s[64:65], s[64:65], vcc
.LBB6_403:                              ;   in Loop: Header=BB6_401 Depth=4
	s_andn2_b64 s[62:63], s[62:63], exec
	s_and_b64 s[66:67], s[66:67], exec
	s_mov_b64 vcc, -1
	s_or_b64 s[62:63], s[62:63], s[66:67]
	s_and_saveexec_b64 s[66:67], s[64:65]
	s_cbranch_execz .LBB6_400
; %bb.404:                              ;   in Loop: Header=BB6_401 Depth=4
	s_sleep 1
	s_trap 2
	ds_read_b64 v[4:5], v0
	s_andn2_b64 s[62:63], s[62:63], exec
	s_waitcnt lgkmcnt(0)
	v_cmp_ge_u64_e32 vcc, v[4:5], v[48:49]
	s_orn2_b64 vcc, vcc, exec
	s_branch .LBB6_400
.LBB6_405:                              ;   in Loop: Header=BB6_274 Depth=3
	s_or_b64 exec, exec, s[44:45]
	s_and_saveexec_b64 vcc, s[60:61]
	s_xor_b64 vcc, exec, vcc
	s_cbranch_execz .LBB6_407
; %bb.406:                              ;   in Loop: Header=BB6_274 Depth=3
	ds_write_b32 v0, v57
	s_trap 2
.LBB6_407:                              ;   in Loop: Header=BB6_274 Depth=3
	s_or_b64 exec, exec, s[42:43]
	;;#ASMSTART
	s_wakeup
	;;#ASMEND
.LBB6_408:                              ;   in Loop: Header=BB6_274 Depth=3
	s_or_b64 exec, exec, s[40:41]
.LBB6_409:                              ;   in Loop: Header=BB6_274 Depth=3
	s_andn2_saveexec_b64 vcc, s[38:39]
	s_cbranch_execz .LBB6_411
; %bb.410:                              ;   in Loop: Header=BB6_274 Depth=3
	;;#ASMSTART
	s_waitcnt lgkmcnt(0) vmcnt(0)
	;;#ASMEND
	s_barrier
.LBB6_411:                              ;   in Loop: Header=BB6_274 Depth=3
	s_or_b64 exec, exec, vcc
	v_and_b32_e32 v4, 16, v62
.LBB6_412:                              ;   in Loop: Header=BB6_274 Depth=3
	s_or_b64 exec, exec, s[28:29]
	v_cmp_ne_u32_e32 vcc, 0, v4
	s_xor_b64 s[28:29], s[12:13], -1
	s_and_b64 vcc, vcc, s[28:29]
	s_and_saveexec_b64 s[28:29], vcc
	s_cbranch_execz .LBB6_414
; %bb.413:                              ;   in Loop: Header=BB6_274 Depth=3
	flat_store_dword v[46:47], v57
.LBB6_414:                              ;   in Loop: Header=BB6_274 Depth=3
	s_or_b64 exec, exec, s[28:29]
	v_and_b32_e32 v3, 48, v62
	v_cmp_ne_u32_e32 vcc, 0, v3
	s_and_saveexec_b64 s[28:29], vcc
	s_cbranch_execz .LBB6_273
; %bb.415:                              ;   in Loop: Header=BB6_274 Depth=3
	v_add_co_u32_e32 v32, vcc, 2, v32
	v_addc_co_u32_e32 v33, vcc, 0, v33, vcc
	flat_store_dwordx2 v[34:35], v[32:33]
	s_branch .LBB6_273
.LBB6_416:                              ;   in Loop: Header=BB6_271 Depth=2
	s_or_b64 exec, exec, s[30:31]
	v_cmp_gt_i32_e32 vcc, 2, v3
	s_and_saveexec_b64 s[30:31], vcc
	s_cbranch_execz .LBB6_270
	s_branch .LBB6_418
.LBB6_417:                              ;   in Loop: Header=BB6_271 Depth=2
	s_or_b64 exec, exec, s[34:35]
	s_or_b64 exec, exec, s[30:31]
	v_cmp_gt_i32_e32 vcc, 2, v3
	s_and_saveexec_b64 s[30:31], vcc
	s_cbranch_execz .LBB6_270
.LBB6_418:                              ;   in Loop: Header=BB6_271 Depth=2
	v_cmp_eq_u32_e64 s[28:29], 0, v3
	s_mov_b64 s[34:35], 0
	s_branch .LBB6_420
.LBB6_419:                              ;   in Loop: Header=BB6_420 Depth=3
	s_or_b64 exec, exec, s[28:29]
	v_add_u32_e32 v8, v2, v8
	s_mov_b64 s[28:29], 0
	s_andn2_b64 exec, exec, s[34:35]
	s_cbranch_execz .LBB6_269
.LBB6_420:                              ;   Parent Loop BB6_47 Depth=1
                                        ;     Parent Loop BB6_271 Depth=2
                                        ; =>    This Loop Header: Depth=3
                                        ;         Child Loop BB6_426 Depth 4
                                        ;         Child Loop BB6_466 Depth 4
	;; [unrolled: 1-line block ×3, first 2 shown]
	v_and_b32_e32 v3, 12, v62
	s_mov_b64 s[38:39], -1
	v_cmp_ne_u32_e32 vcc, 0, v3
	s_and_saveexec_b64 s[36:37], vcc
	s_cbranch_execz .LBB6_432
; %bb.421:                              ;   in Loop: Header=BB6_420 Depth=3
	v_and_b32_e32 v4, 8, v62
	v_add_co_u32_e32 v12, vcc, v50, v4
	v_addc_co_u32_e32 v13, vcc, 0, v51, vcc
	v_add_co_u32_e32 v10, vcc, 2, v32
	v_addc_co_u32_e32 v11, vcc, 0, v33, vcc
	v_cmp_lt_u64_e32 vcc, v[12:13], v[10:11]
	v_mov_b32_e32 v3, 1
	s_and_saveexec_b64 s[38:39], vcc
	s_cbranch_execz .LBB6_431
; %bb.422:                              ;   in Loop: Header=BB6_420 Depth=3
	s_mov_b64 s[40:41], 0
	v_mov_b32_e32 v3, 0
                                        ; implicit-def: $sgpr42_sgpr43
	s_branch .LBB6_426
.LBB6_423:                              ;   in Loop: Header=BB6_426 Depth=4
	s_or_b64 exec, exec, s[64:65]
	v_mov_b32_e32 v5, 0
	s_orn2_b64 s[62:63], s[62:63], exec
.LBB6_424:                              ;   in Loop: Header=BB6_426 Depth=4
	s_or_b64 exec, exec, s[60:61]
	s_andn2_b64 vcc, s[42:43], exec
	s_and_b64 s[42:43], s[62:63], exec
	s_or_b64 s[42:43], vcc, s[42:43]
	v_mov_b32_e32 v3, v5
.LBB6_425:                              ;   in Loop: Header=BB6_426 Depth=4
	s_or_b64 exec, exec, s[44:45]
	s_waitcnt vmcnt(0) lgkmcnt(0)
	v_add_co_u32_e32 v12, vcc, v50, v4
	v_addc_co_u32_e32 v13, vcc, 0, v51, vcc
	v_cmp_ge_u64_e32 vcc, v[12:13], v[10:11]
	s_xor_b64 s[44:45], s[42:43], -1
	s_or_b64 vcc, s[44:45], vcc
	s_and_b64 vcc, exec, vcc
	s_or_b64 s[40:41], vcc, s[40:41]
	s_andn2_b64 exec, exec, s[40:41]
	s_cbranch_execz .LBB6_430
.LBB6_426:                              ;   Parent Loop BB6_47 Depth=1
                                        ;     Parent Loop BB6_271 Depth=2
                                        ;       Parent Loop BB6_420 Depth=3
                                        ; =>      This Inner Loop Header: Depth=4
	s_sleep 1
	flat_load_dwordx2 v[50:51], v[34:35] glc
	v_and_b32_e32 v5, 64, v62
	v_cmp_eq_u32_e32 vcc, 0, v5
	s_andn2_b64 s[42:43], s[42:43], exec
	s_and_saveexec_b64 s[44:45], vcc
	s_cbranch_execz .LBB6_425
; %bb.427:                              ;   in Loop: Header=BB6_426 Depth=4
	v_add_u32_e32 v5, 1, v3
	v_cmp_lt_i32_e32 vcc, s85, v3
	s_mov_b64 s[62:63], -1
	s_and_saveexec_b64 s[60:61], vcc
	s_cbranch_execz .LBB6_424
; %bb.428:                              ;   in Loop: Header=BB6_426 Depth=4
	s_trap 2
	ds_read_b64 v[12:13], v0
	s_waitcnt vmcnt(0) lgkmcnt(0)
	flat_load_dword v3, v[12:13] glc
	s_waitcnt vmcnt(0) lgkmcnt(0)
	buffer_invl2
	buffer_wbinvl1_vol
	v_cmp_ne_u32_e32 vcc, 0, v3
	s_and_saveexec_b64 s[64:65], vcc
	s_cbranch_execz .LBB6_423
; %bb.429:                              ;   in Loop: Header=BB6_426 Depth=4
	v_or_b32_e32 v62, 64, v62
	s_xor_b64 s[62:63], exec, -1
	ds_write_b32 v0, v3
	s_trap 2
	s_branch .LBB6_423
.LBB6_430:                              ;   in Loop: Header=BB6_420 Depth=3
	s_or_b64 exec, exec, s[40:41]
	v_and_b32_e32 v3, 12, v62
.LBB6_431:                              ;   in Loop: Header=BB6_420 Depth=3
	s_or_b64 exec, exec, s[38:39]
	v_cmp_eq_u32_e32 vcc, 0, v3
	s_orn2_b64 s[38:39], vcc, exec
	;;#ASMSTART
	s_wakeup
	;;#ASMEND
.LBB6_432:                              ;   in Loop: Header=BB6_420 Depth=3
	s_or_b64 exec, exec, s[36:37]
	s_xor_b64 s[28:29], s[28:29], -1
	s_and_b64 s[28:29], exec, s[28:29]
	s_or_b64 s[34:35], s[28:29], s[34:35]
	v_sub_u32_e32 v3, v18, v8
	s_xor_b64 s[28:29], s[38:39], -1
	v_min_i32_e32 v2, v2, v3
	s_and_saveexec_b64 s[36:37], s[28:29]
	s_cbranch_execz .LBB6_458
; %bb.433:                              ;   in Loop: Header=BB6_420 Depth=3
	v_and_b32_e32 v3, 0x108, v62
	v_cmp_ne_u32_e32 vcc, s86, v3
	v_and_b32_e32 v4, 7, v32
	s_and_saveexec_b64 s[28:29], vcc
	s_xor_b64 s[28:29], exec, s[28:29]
                                        ; implicit-def: $vgpr10_vgpr11
; %bb.434:                              ;   in Loop: Header=BB6_420 Depth=3
	v_mov_b32_e32 v11, v52
; %bb.435:                              ;   in Loop: Header=BB6_420 Depth=3
	s_andn2_saveexec_b64 s[28:29], s[28:29]
	s_cbranch_execz .LBB6_437
; %bb.436:                              ;   in Loop: Header=BB6_420 Depth=3
	v_accvgpr_read_b32 v12, a24
	v_accvgpr_read_b32 v13, a25
	v_ashrrev_i32_e32 v3, 31, v2
	v_mov_b32_e32 v11, v52
	v_mad_u64_u32 v[12:13], vcc, v4, 24, v[12:13]
	v_lshlrev_b64 v[14:15], 2, v[2:3]
	flat_store_dwordx2 v[12:13], v[14:15] offset:8
.LBB6_437:                              ;   in Loop: Header=BB6_420 Depth=3
	s_or_b64 exec, exec, s[28:29]
	v_and_b32_e32 v3, 0x100, v62
	v_cmp_ne_u32_e32 vcc, 0, v3
	s_mov_b64 s[28:29], -1
                                        ; implicit-def: $vgpr12_vgpr13
	s_and_saveexec_b64 s[38:39], vcc
	s_cbranch_execz .LBB6_441
; %bb.438:                              ;   in Loop: Header=BB6_420 Depth=3
	v_accvgpr_read_b32 v12, a24
	v_accvgpr_read_b32 v13, a25
	v_mad_u64_u32 v[14:15], s[28:29], v4, 24, v[12:13]
	v_mov_b32_e32 v10, v15
	v_mad_u64_u32 v[12:13], s[28:29], v11, 24, v[10:11]
	v_mov_b32_e32 v15, v12
	flat_load_dword v3, v[14:15]
                                        ; implicit-def: $vgpr12_vgpr13
	s_waitcnt vmcnt(0) lgkmcnt(0)
	v_cmp_ne_u32_e32 vcc, 1, v3
	v_cmp_eq_u32_e64 s[28:29], 1, v3
	s_and_saveexec_b64 s[40:41], s[28:29]
	s_cbranch_execz .LBB6_440
; %bb.439:                              ;   in Loop: Header=BB6_420 Depth=3
	flat_load_dword v12, v[14:15] offset:4 glc
	s_waitcnt vmcnt(0) lgkmcnt(0)
	v_ashrrev_i32_e32 v13, 31, v12
	v_lshrrev_b64 v[12:13], 2, v[12:13]
.LBB6_440:                              ;   in Loop: Header=BB6_420 Depth=3
	s_or_b64 exec, exec, s[40:41]
	s_orn2_b64 s[28:29], vcc, exec
.LBB6_441:                              ;   in Loop: Header=BB6_420 Depth=3
	s_or_b64 exec, exec, s[38:39]
	s_and_saveexec_b64 vcc, s[28:29]
; %bb.442:                              ;   in Loop: Header=BB6_420 Depth=3
	v_mul_lo_u32 v3, v11, v30
	v_mul_lo_u32 v5, v4, v45
	v_mad_u64_u32 v[12:13], s[28:29], v4, v30, 0
	v_add3_u32 v13, v13, v5, v3
; %bb.443:                              ;   in Loop: Header=BB6_420 Depth=3
	s_or_b64 exec, exec, vcc
	v_lshlrev_b64 v[4:5], 2, v[12:13]
	v_add_co_u32_e32 v4, vcc, v36, v4
	v_addc_co_u32_e32 v5, vcc, v37, v5, vcc
	v_and_b32_e32 v3, 0x2000, v62
	v_cmp_ne_u32_e32 vcc, 0, v3
	s_trap 2
	ds_write_b64 v0, v[4:5]
	s_and_saveexec_b64 s[28:29], vcc
	s_cbranch_execz .LBB6_445
; %bb.444:                              ;   in Loop: Header=BB6_420 Depth=3
	ds_read_b64 v[4:5], v0 offset:584
	s_waitcnt lgkmcnt(0)
	v_add_co_u32_e32 v4, vcc, 1, v4
	v_addc_co_u32_e32 v5, vcc, 0, v5, vcc
	ds_write_b64 v0, v[4:5] offset:584
.LBB6_445:                              ;   in Loop: Header=BB6_420 Depth=3
	s_or_b64 exec, exec, s[28:29]
	v_add_co_u32_e32 v32, vcc, 2, v32
	v_addc_co_u32_e32 v33, vcc, 0, v33, vcc
	s_or_b64 exec, exec, s[36:37]
	s_and_saveexec_b64 s[28:29], s[10:11]
	s_cbranch_execnz .LBB6_459
.LBB6_446:                              ;   in Loop: Header=BB6_420 Depth=3
	s_or_b64 exec, exec, s[28:29]
                                        ; implicit-def: $vgpr3
	s_and_saveexec_b64 s[28:29], s[56:57]
	s_xor_b64 s[28:29], exec, s[28:29]
	s_cbranch_execz .LBB6_484
.LBB6_447:                              ;   in Loop: Header=BB6_420 Depth=3
	s_and_saveexec_b64 vcc, s[52:53]
	s_xor_b64 s[36:37], exec, vcc
	s_cbranch_execz .LBB6_474
; %bb.448:                              ;   in Loop: Header=BB6_420 Depth=3
	s_and_saveexec_b64 s[38:39], s[16:17]
	s_cbranch_execz .LBB6_473
; %bb.449:                              ;   in Loop: Header=BB6_420 Depth=3
	s_mov_b64 s[42:43], exec
	v_mbcnt_lo_u32_b32 v3, s42, 0
	v_mbcnt_hi_u32_b32 v3, s43, v3
	v_cmp_eq_u32_e32 vcc, 0, v3
	;;#ASMSTART
	s_waitcnt lgkmcnt(0) vmcnt(0)
	;;#ASMEND
	s_and_saveexec_b64 s[40:41], vcc
	s_cbranch_execz .LBB6_451
; %bb.450:                              ;   in Loop: Header=BB6_420 Depth=3
	s_bcnt1_i32_b64 vcc_lo, s[42:43]
	v_mov_b32_e32 v4, vcc_lo
	v_mov_b32_e32 v5, v52
	ds_add_u64 v0, v[4:5]
	s_trap 2
.LBB6_451:                              ;   in Loop: Header=BB6_420 Depth=3
	s_or_b64 exec, exec, s[40:41]
	s_trap 2
	ds_read_b64 v[4:5], v0
	v_add_co_u32_e32 v48, vcc, v48, v54
	v_addc_co_u32_e32 v49, vcc, 0, v49, vcc
	s_waitcnt lgkmcnt(0)
	v_cmp_lt_u64_e32 vcc, v[4:5], v[48:49]
	s_and_saveexec_b64 s[40:41], vcc
	s_cbranch_execz .LBB6_472
; %bb.452:                              ;   in Loop: Header=BB6_420 Depth=3
	s_mov_b32 s66, 0
	s_mov_b64 s[42:43], 0
                                        ; implicit-def: $sgpr44_sgpr45
                                        ; implicit-def: $sgpr60_sgpr61
	s_branch .LBB6_454
.LBB6_453:                              ;   in Loop: Header=BB6_454 Depth=4
	s_or_b64 exec, exec, s[64:65]
	s_and_b64 vcc, exec, vcc
	s_or_b64 s[42:43], vcc, s[42:43]
	s_andn2_b64 vcc, s[44:45], exec
	s_and_b64 s[44:45], s[60:61], exec
	s_or_b64 s[44:45], vcc, s[44:45]
	s_andn2_b64 exec, exec, s[42:43]
	s_cbranch_execz .LBB6_470
.LBB6_454:                              ;   Parent Loop BB6_47 Depth=1
                                        ;     Parent Loop BB6_271 Depth=2
                                        ;       Parent Loop BB6_420 Depth=3
                                        ; =>      This Inner Loop Header: Depth=4
	s_add_i32 s66, s66, 1
	s_cmpk_lg_i32 s66, 0x2710
	s_cselect_b64 s[62:63], -1, 0
	s_and_b64 vcc, exec, s[62:63]
                                        ; implicit-def: $sgpr64_sgpr65
	s_cbranch_vccnz .LBB6_456
; %bb.455:                              ;   in Loop: Header=BB6_454 Depth=4
	s_trap 2
	ds_read_b64 v[4:5], v0
	s_andn2_b64 s[62:63], s[62:63], exec
	s_mov_b32 s66, 0
	s_mov_b64 s[64:65], -1
	s_waitcnt vmcnt(0) lgkmcnt(0)
	flat_load_dword v3, v[4:5] glc
	s_waitcnt vmcnt(0) lgkmcnt(0)
	buffer_invl2
	buffer_wbinvl1_vol
	v_cmp_eq_u32_e32 vcc, 0, v3
	s_and_b64 vcc, vcc, exec
	s_or_b64 s[62:63], s[62:63], vcc
.LBB6_456:                              ;   in Loop: Header=BB6_454 Depth=4
	s_andn2_b64 s[60:61], s[60:61], exec
	s_and_b64 s[64:65], s[64:65], exec
	s_mov_b64 vcc, -1
	s_or_b64 s[60:61], s[60:61], s[64:65]
	s_and_saveexec_b64 s[64:65], s[62:63]
	s_cbranch_execz .LBB6_453
; %bb.457:                              ;   in Loop: Header=BB6_454 Depth=4
	s_sleep 1
	s_trap 2
	ds_read_b64 v[4:5], v0
	s_andn2_b64 s[60:61], s[60:61], exec
	s_waitcnt lgkmcnt(0)
	v_cmp_ge_u64_e32 vcc, v[4:5], v[48:49]
	s_orn2_b64 vcc, vcc, exec
	s_branch .LBB6_453
.LBB6_458:                              ;   in Loop: Header=BB6_420 Depth=3
	s_or_b64 exec, exec, s[36:37]
	s_and_saveexec_b64 s[28:29], s[10:11]
	s_cbranch_execz .LBB6_446
.LBB6_459:                              ;   in Loop: Header=BB6_420 Depth=3
	s_and_saveexec_b64 vcc, s[52:53]
	s_xor_b64 s[36:37], exec, vcc
	s_cbranch_execz .LBB6_481
; %bb.460:                              ;   in Loop: Header=BB6_420 Depth=3
	s_and_saveexec_b64 s[38:39], s[16:17]
	s_cbranch_execz .LBB6_480
; %bb.461:                              ;   in Loop: Header=BB6_420 Depth=3
	s_mov_b64 s[42:43], exec
	v_mbcnt_lo_u32_b32 v3, s42, 0
	v_mbcnt_hi_u32_b32 v3, s43, v3
	v_cmp_eq_u32_e32 vcc, 0, v3
	s_waitcnt vmcnt(0) lgkmcnt(0)
	buffer_wbinvl1_vol
	s_and_saveexec_b64 s[40:41], vcc
	s_cbranch_execz .LBB6_463
; %bb.462:                              ;   in Loop: Header=BB6_420 Depth=3
	s_bcnt1_i32_b64 vcc_lo, s[42:43]
	v_mov_b32_e32 v4, vcc_lo
	v_mov_b32_e32 v5, v52
	ds_add_u64 v0, v[4:5]
	s_trap 2
.LBB6_463:                              ;   in Loop: Header=BB6_420 Depth=3
	s_or_b64 exec, exec, s[40:41]
	s_trap 2
	ds_read_b64 v[4:5], v0
	v_add_co_u32_e32 v48, vcc, v48, v54
	v_addc_co_u32_e32 v49, vcc, 0, v49, vcc
	s_waitcnt lgkmcnt(0)
	v_cmp_lt_u64_e32 vcc, v[4:5], v[48:49]
	s_and_saveexec_b64 s[40:41], vcc
	s_cbranch_execz .LBB6_479
; %bb.464:                              ;   in Loop: Header=BB6_420 Depth=3
	s_mov_b32 s66, 0
	s_mov_b64 s[42:43], 0
                                        ; implicit-def: $sgpr44_sgpr45
                                        ; implicit-def: $sgpr60_sgpr61
	s_branch .LBB6_466
.LBB6_465:                              ;   in Loop: Header=BB6_466 Depth=4
	s_or_b64 exec, exec, s[64:65]
	s_and_b64 vcc, exec, vcc
	s_or_b64 s[42:43], vcc, s[42:43]
	s_andn2_b64 vcc, s[44:45], exec
	s_and_b64 s[44:45], s[60:61], exec
	s_or_b64 s[44:45], vcc, s[44:45]
	s_andn2_b64 exec, exec, s[42:43]
	s_cbranch_execz .LBB6_477
.LBB6_466:                              ;   Parent Loop BB6_47 Depth=1
                                        ;     Parent Loop BB6_271 Depth=2
                                        ;       Parent Loop BB6_420 Depth=3
                                        ; =>      This Inner Loop Header: Depth=4
	s_add_i32 s66, s66, 1
	s_cmpk_lg_i32 s66, 0x2710
	s_cselect_b64 s[62:63], -1, 0
	s_and_b64 vcc, exec, s[62:63]
                                        ; implicit-def: $sgpr64_sgpr65
	s_cbranch_vccnz .LBB6_468
; %bb.467:                              ;   in Loop: Header=BB6_466 Depth=4
	s_trap 2
	ds_read_b64 v[4:5], v0
	s_andn2_b64 s[62:63], s[62:63], exec
	s_mov_b32 s66, 0
	s_mov_b64 s[64:65], -1
	s_waitcnt lgkmcnt(0)
	flat_load_dword v3, v[4:5] glc
	s_waitcnt vmcnt(0) lgkmcnt(0)
	buffer_invl2
	buffer_wbinvl1_vol
	v_cmp_eq_u32_e32 vcc, 0, v3
	s_and_b64 vcc, vcc, exec
	s_or_b64 s[62:63], s[62:63], vcc
.LBB6_468:                              ;   in Loop: Header=BB6_466 Depth=4
	s_andn2_b64 s[60:61], s[60:61], exec
	s_and_b64 s[64:65], s[64:65], exec
	s_mov_b64 vcc, -1
	s_or_b64 s[60:61], s[60:61], s[64:65]
	s_and_saveexec_b64 s[64:65], s[62:63]
	s_cbranch_execz .LBB6_465
; %bb.469:                              ;   in Loop: Header=BB6_466 Depth=4
	s_sleep 1
	s_trap 2
	ds_read_b64 v[4:5], v0
	s_andn2_b64 s[60:61], s[60:61], exec
	s_waitcnt lgkmcnt(0)
	v_cmp_ge_u64_e32 vcc, v[4:5], v[48:49]
	s_orn2_b64 vcc, vcc, exec
	s_branch .LBB6_465
.LBB6_470:                              ;   in Loop: Header=BB6_420 Depth=3
	s_or_b64 exec, exec, s[42:43]
	s_and_saveexec_b64 vcc, s[44:45]
	s_xor_b64 vcc, exec, vcc
	s_cbranch_execz .LBB6_472
; %bb.471:                              ;   in Loop: Header=BB6_420 Depth=3
	ds_write_b32 v0, v57
	s_trap 2
.LBB6_472:                              ;   in Loop: Header=BB6_420 Depth=3
	s_or_b64 exec, exec, s[40:41]
	;;#ASMSTART
	s_wakeup
	;;#ASMEND
.LBB6_473:                              ;   in Loop: Header=BB6_420 Depth=3
	s_or_b64 exec, exec, s[38:39]
.LBB6_474:                              ;   in Loop: Header=BB6_420 Depth=3
	s_andn2_saveexec_b64 vcc, s[36:37]
	s_cbranch_execz .LBB6_476
; %bb.475:                              ;   in Loop: Header=BB6_420 Depth=3
	;;#ASMSTART
	s_waitcnt lgkmcnt(0) vmcnt(0)
	;;#ASMEND
	s_barrier
.LBB6_476:                              ;   in Loop: Header=BB6_420 Depth=3
	s_or_b64 exec, exec, vcc
	v_and_b32_e32 v3, 16, v62
	s_andn2_saveexec_b64 s[28:29], s[28:29]
	s_cbranch_execz .LBB6_488
	s_branch .LBB6_485
.LBB6_477:                              ;   in Loop: Header=BB6_420 Depth=3
	s_or_b64 exec, exec, s[42:43]
	s_and_saveexec_b64 vcc, s[44:45]
	s_xor_b64 vcc, exec, vcc
	s_cbranch_execz .LBB6_479
; %bb.478:                              ;   in Loop: Header=BB6_420 Depth=3
	ds_write_b32 v0, v57
	s_trap 2
.LBB6_479:                              ;   in Loop: Header=BB6_420 Depth=3
	s_or_b64 exec, exec, s[40:41]
	;;#ASMSTART
	s_wakeup
	;;#ASMEND
.LBB6_480:                              ;   in Loop: Header=BB6_420 Depth=3
	s_or_b64 exec, exec, s[38:39]
.LBB6_481:                              ;   in Loop: Header=BB6_420 Depth=3
	s_andn2_saveexec_b64 vcc, s[36:37]
	s_cbranch_execz .LBB6_483
; %bb.482:                              ;   in Loop: Header=BB6_420 Depth=3
	s_waitcnt vmcnt(0) lgkmcnt(0)
	buffer_wbinvl1_vol
	s_barrier
.LBB6_483:                              ;   in Loop: Header=BB6_420 Depth=3
	s_or_b64 exec, exec, vcc
	s_or_b64 exec, exec, s[28:29]
                                        ; implicit-def: $vgpr3
	s_and_saveexec_b64 s[28:29], s[56:57]
	s_xor_b64 s[28:29], exec, s[28:29]
	s_cbranch_execnz .LBB6_447
.LBB6_484:                              ;   in Loop: Header=BB6_420 Depth=3
	s_andn2_saveexec_b64 s[28:29], s[28:29]
	s_cbranch_execz .LBB6_488
.LBB6_485:                              ;   in Loop: Header=BB6_420 Depth=3
	s_trap 2
	ds_read_b32 v4, v0
	v_cmp_lt_i32_e32 vcc, 0, v2
	v_and_b32_e32 v5, 16, v62
	v_and_b32_e32 v3, 16, v62
	s_waitcnt lgkmcnt(0)
	v_readfirstlane_b32 s36, v4
	s_cmp_eq_u32 s36, 0
	s_cselect_b64 s[36:37], -1, 0
	s_and_b64 s[36:37], vcc, s[36:37]
	v_cmp_ne_u32_e32 vcc, 0, v5
	s_and_b64 s[36:37], vcc, s[36:37]
	s_and_saveexec_b64 vcc, s[36:37]
	s_cbranch_execz .LBB6_487
; %bb.486:                              ;   in Loop: Header=BB6_420 Depth=3
	v_mov_b32_e32 v3, 1
	s_waitcnt vmcnt(0)
	buffer_wbinvl1_vol
.LBB6_487:                              ;   in Loop: Header=BB6_420 Depth=3
	s_or_b64 exec, exec, vcc
.LBB6_488:                              ;   in Loop: Header=BB6_420 Depth=3
	s_or_b64 exec, exec, s[28:29]
	v_cmp_ne_u32_e32 vcc, 0, v3
	s_xor_b64 s[28:29], s[12:13], -1
	s_and_b64 vcc, vcc, s[28:29]
	s_and_saveexec_b64 s[28:29], vcc
	s_cbranch_execz .LBB6_490
; %bb.489:                              ;   in Loop: Header=BB6_420 Depth=3
	flat_store_dword v[46:47], v57
.LBB6_490:                              ;   in Loop: Header=BB6_420 Depth=3
	s_or_b64 exec, exec, s[28:29]
	v_and_b32_e32 v3, 48, v62
	v_cmp_ne_u32_e32 vcc, 0, v3
	s_and_saveexec_b64 s[28:29], vcc
	s_cbranch_execz .LBB6_419
; %bb.491:                              ;   in Loop: Header=BB6_420 Depth=3
	v_add_co_u32_e32 v32, vcc, 2, v32
	v_addc_co_u32_e32 v33, vcc, 0, v33, vcc
	flat_store_dwordx2 v[34:35], v[32:33]
	s_branch .LBB6_419
.LBB6_492:                              ;   in Loop: Header=BB6_47 Depth=1
	v_accvgpr_read_b32 v19, a17
	v_accvgpr_read_b32 v18, a16
.LBB6_493:                              ;   in Loop: Header=BB6_47 Depth=1
	v_accvgpr_read_b32 v8, a30
	v_accvgpr_read_b32 v9, a31
	v_mul_lo_u32 v2, v9, s72
	v_mul_lo_u32 v3, v8, s73
	v_mad_u64_u32 v[4:5], s[28:29], v8, s72, 0
	v_add3_u32 v5, v5, v3, v2
	v_accvgpr_read_b32 v2, a32
	v_accvgpr_read_b32 v3, a33
	v_sub_co_u32_e32 v2, vcc, v2, v4
	v_subb_co_u32_e32 v3, vcc, v3, v5, vcc
	v_cmp_lt_i64_e32 vcc, v[8:9], v[2:3]
	v_cndmask_b32_e32 v3, v2, v8, vcc
	v_max_i32_e32 v44, 0, v3
	v_add_u32_e32 v2, 31, v44
	v_lshrrev_b32_e32 v2, 1, v2
	v_and_b32_e32 v2, 0x3ffffff0, v2
	v_cmp_lt_i32_e32 vcc, 0, v3
	v_max_i32_e32 v2, s81, v2
	s_and_b64 s[28:29], s[58:59], vcc
	v_mov_b32_e32 v3, 0
	v_mov_b32_e32 v24, 0
	s_and_saveexec_b64 s[60:61], s[28:29]
	s_cbranch_execz .LBB6_678
; %bb.494:                              ;   in Loop: Header=BB6_47 Depth=1
	v_accvgpr_read_b32 v8, a34
	v_accvgpr_read_b32 v9, a35
	v_add_co_u32_e32 v4, vcc, v4, v8
	v_addc_co_u32_e32 v5, vcc, v5, v9, vcc
	v_lshlrev_b64 v[4:5], 2, v[4:5]
	v_accvgpr_write_b32 a37, v5
	s_mov_b32 s87, 1
	s_mov_b64 s[64:65], -1
	s_mov_b64 s[62:63], 0
	v_mov_b32_e32 v24, 0
	v_accvgpr_write_b32 a36, v4
	v_accvgpr_write_b32 a22, v44
	s_branch .LBB6_496
.LBB6_495:                              ;   in Loop: Header=BB6_496 Depth=2
	s_or_b64 exec, exec, s[28:29]
	v_add_u32_e32 v24, v2, v24
	v_cmp_ge_i32_e32 vcc, v24, v44
	s_xor_b64 s[28:29], s[64:65], -1
	s_or_b64 s[28:29], s[28:29], vcc
	s_and_b64 s[28:29], exec, s[28:29]
	s_or_b64 s[62:63], s[28:29], s[62:63]
	s_mov_b64 s[64:65], 0
	v_mov_b32_e32 v3, s87
	s_mov_b32 s87, 2
	s_andn2_b64 exec, exec, s[62:63]
	s_cbranch_execz .LBB6_677
.LBB6_496:                              ;   Parent Loop BB6_47 Depth=1
                                        ; =>  This Loop Header: Depth=2
                                        ;       Child Loop BB6_504 Depth 3
                                        ;       Child Loop BB6_532 Depth 3
	;; [unrolled: 1-line block ×9, first 2 shown]
                                        ;         Child Loop BB6_578 Depth 4
                                        ;       Child Loop BB6_590 Depth 3
                                        ;       Child Loop BB6_595 Depth 3
                                        ;         Child Loop BB6_596 Depth 4
                                        ;       Child Loop BB6_639 Depth 3
                                        ;       Child Loop BB6_662 Depth 3
	s_and_saveexec_b64 s[28:29], s[4:5]
	s_cbranch_execz .LBB6_498
; %bb.497:                              ;   in Loop: Header=BB6_496 Depth=2
	s_trap 2
	ds_read2_b64 v[8:11], v0 offset1:1
	ds_read_b64 v[4:5], v0
	v_accvgpr_read_b32 v14, a36
	v_accvgpr_read_b32 v15, a37
	v_ashrrev_i32_e32 v25, 31, v24
	s_waitcnt lgkmcnt(0)
	v_add_co_u32_e32 v3, vcc, v8, v14
	v_addc_co_u32_e32 v13, vcc, v9, v15, vcc
	v_lshlrev_b64 v[8:9], 2, v[24:25]
	v_add_co_u32_e32 v12, vcc, v3, v8
	v_addc_co_u32_e32 v13, vcc, v13, v9, vcc
	v_add_co_u32_e32 v3, vcc, v10, v14
	v_addc_co_u32_e32 v11, vcc, v11, v15, vcc
	;; [unrolled: 2-line block ×3, first 2 shown]
	v_add_co_u32_e32 v3, vcc, v4, v14
	ds_write_b64 v0, v[10:11]
	v_addc_co_u32_e32 v10, vcc, v5, v15, vcc
	v_add_co_u32_e32 v3, vcc, v3, v8
	v_addc_co_u32_e32 v8, vcc, v10, v9, vcc
	v_cmp_ne_u64_e32 vcc, 0, v[4:5]
	v_cndmask_b32_e32 v5, 0, v8, vcc
	v_cndmask_b32_e32 v4, 0, v3, vcc
	ds_write_b64 v0, v[12:13]
	ds_write_b64 v0, v[4:5]
.LBB6_498:                              ;   in Loop: Header=BB6_496 Depth=2
	s_or_b64 exec, exec, s[28:29]
	v_and_b32_e32 v3, 12, v62
	v_cmp_ne_u32_e32 vcc, 0, v3
	s_mov_b64 s[30:31], -1
	s_and_saveexec_b64 s[28:29], vcc
	s_cbranch_execz .LBB6_510
; %bb.499:                              ;   in Loop: Header=BB6_496 Depth=2
	v_and_b32_e32 v4, 8, v62
	v_add_co_u32_e32 v10, vcc, v50, v4
	v_addc_co_u32_e32 v11, vcc, 0, v51, vcc
	v_add_co_u32_e32 v8, vcc, 2, v32
	v_addc_co_u32_e32 v9, vcc, 0, v33, vcc
	v_cmp_lt_u64_e32 vcc, v[10:11], v[8:9]
	v_mov_b32_e32 v3, 1
	s_and_saveexec_b64 s[30:31], vcc
	s_cbranch_execz .LBB6_509
; %bb.500:                              ;   in Loop: Header=BB6_496 Depth=2
	s_mov_b64 s[34:35], 0
	v_mov_b32_e32 v3, 0
                                        ; implicit-def: $sgpr36_sgpr37
	s_branch .LBB6_504
.LBB6_501:                              ;   in Loop: Header=BB6_504 Depth=3
	s_or_b64 exec, exec, s[44:45]
	v_mov_b32_e32 v5, 0
	s_orn2_b64 s[42:43], s[42:43], exec
.LBB6_502:                              ;   in Loop: Header=BB6_504 Depth=3
	s_or_b64 exec, exec, s[40:41]
	s_andn2_b64 vcc, s[36:37], exec
	s_and_b64 s[36:37], s[42:43], exec
	s_or_b64 s[36:37], vcc, s[36:37]
	v_mov_b32_e32 v3, v5
.LBB6_503:                              ;   in Loop: Header=BB6_504 Depth=3
	s_or_b64 exec, exec, s[38:39]
	s_waitcnt vmcnt(0) lgkmcnt(0)
	v_add_co_u32_e32 v10, vcc, v50, v4
	v_addc_co_u32_e32 v11, vcc, 0, v51, vcc
	v_cmp_ge_u64_e32 vcc, v[10:11], v[8:9]
	s_xor_b64 s[38:39], s[36:37], -1
	s_or_b64 vcc, s[38:39], vcc
	s_and_b64 vcc, exec, vcc
	s_or_b64 s[34:35], vcc, s[34:35]
	s_andn2_b64 exec, exec, s[34:35]
	s_cbranch_execz .LBB6_508
.LBB6_504:                              ;   Parent Loop BB6_47 Depth=1
                                        ;     Parent Loop BB6_496 Depth=2
                                        ; =>    This Inner Loop Header: Depth=3
	s_sleep 1
	flat_load_dwordx2 v[50:51], v[34:35] glc
	v_and_b32_e32 v5, 64, v62
	v_cmp_eq_u32_e32 vcc, 0, v5
	s_andn2_b64 s[36:37], s[36:37], exec
	s_and_saveexec_b64 s[38:39], vcc
	s_cbranch_execz .LBB6_503
; %bb.505:                              ;   in Loop: Header=BB6_504 Depth=3
	v_add_u32_e32 v5, 1, v3
	v_cmp_lt_i32_e32 vcc, s85, v3
	s_mov_b64 s[42:43], -1
	s_and_saveexec_b64 s[40:41], vcc
	s_cbranch_execz .LBB6_502
; %bb.506:                              ;   in Loop: Header=BB6_504 Depth=3
	s_trap 2
	ds_read_b64 v[10:11], v0
	s_waitcnt vmcnt(0) lgkmcnt(0)
	flat_load_dword v3, v[10:11] glc
	s_waitcnt vmcnt(0) lgkmcnt(0)
	buffer_invl2
	buffer_wbinvl1_vol
	v_cmp_ne_u32_e32 vcc, 0, v3
	s_and_saveexec_b64 s[44:45], vcc
	s_cbranch_execz .LBB6_501
; %bb.507:                              ;   in Loop: Header=BB6_504 Depth=3
	v_or_b32_e32 v62, 64, v62
	s_xor_b64 s[42:43], exec, -1
	ds_write_b32 v0, v3
	s_trap 2
	s_branch .LBB6_501
.LBB6_508:                              ;   in Loop: Header=BB6_496 Depth=2
	s_or_b64 exec, exec, s[34:35]
	v_and_b32_e32 v3, 12, v62
.LBB6_509:                              ;   in Loop: Header=BB6_496 Depth=2
	s_or_b64 exec, exec, s[30:31]
	v_cmp_eq_u32_e32 vcc, 0, v3
	s_orn2_b64 s[30:31], vcc, exec
	;;#ASMSTART
	s_wakeup
	;;#ASMEND
.LBB6_510:                              ;   in Loop: Header=BB6_496 Depth=2
	s_or_b64 exec, exec, s[28:29]
	v_sub_u32_e32 v3, v44, v24
	s_xor_b64 s[28:29], s[30:31], -1
	v_min_i32_e32 v2, v2, v3
	s_and_saveexec_b64 s[30:31], s[28:29]
	s_cbranch_execz .LBB6_524
; %bb.511:                              ;   in Loop: Header=BB6_496 Depth=2
	v_and_b32_e32 v3, 0x108, v62
	v_cmp_ne_u32_e32 vcc, s86, v3
	v_and_b32_e32 v4, 7, v32
	s_and_saveexec_b64 s[28:29], vcc
	s_xor_b64 s[28:29], exec, s[28:29]
                                        ; implicit-def: $vgpr8_vgpr9
; %bb.512:                              ;   in Loop: Header=BB6_496 Depth=2
	v_mov_b32_e32 v9, v52
; %bb.513:                              ;   in Loop: Header=BB6_496 Depth=2
	s_andn2_saveexec_b64 s[28:29], s[28:29]
	s_cbranch_execz .LBB6_515
; %bb.514:                              ;   in Loop: Header=BB6_496 Depth=2
	v_accvgpr_read_b32 v10, a24
	v_accvgpr_read_b32 v11, a25
	v_ashrrev_i32_e32 v3, 31, v2
	v_mov_b32_e32 v9, v52
	v_mad_u64_u32 v[10:11], vcc, v4, 24, v[10:11]
	v_lshlrev_b64 v[12:13], 2, v[2:3]
	flat_store_dwordx2 v[10:11], v[12:13] offset:8
.LBB6_515:                              ;   in Loop: Header=BB6_496 Depth=2
	s_or_b64 exec, exec, s[28:29]
	v_and_b32_e32 v3, 0x100, v62
	v_cmp_ne_u32_e32 vcc, 0, v3
	s_mov_b64 s[28:29], -1
                                        ; implicit-def: $vgpr10_vgpr11
	s_and_saveexec_b64 s[34:35], vcc
	s_cbranch_execz .LBB6_519
; %bb.516:                              ;   in Loop: Header=BB6_496 Depth=2
	v_accvgpr_read_b32 v10, a24
	v_accvgpr_read_b32 v11, a25
	v_mad_u64_u32 v[12:13], s[28:29], v4, 24, v[10:11]
	v_mov_b32_e32 v8, v13
	v_mad_u64_u32 v[10:11], s[28:29], v9, 24, v[8:9]
	v_mov_b32_e32 v13, v10
	flat_load_dword v3, v[12:13]
                                        ; implicit-def: $vgpr10_vgpr11
	s_waitcnt vmcnt(0) lgkmcnt(0)
	v_cmp_ne_u32_e32 vcc, 1, v3
	v_cmp_eq_u32_e64 s[28:29], 1, v3
	s_and_saveexec_b64 s[36:37], s[28:29]
	s_cbranch_execz .LBB6_518
; %bb.517:                              ;   in Loop: Header=BB6_496 Depth=2
	flat_load_dword v10, v[12:13] offset:4 glc
	s_waitcnt vmcnt(0) lgkmcnt(0)
	v_ashrrev_i32_e32 v11, 31, v10
	v_lshrrev_b64 v[10:11], 2, v[10:11]
.LBB6_518:                              ;   in Loop: Header=BB6_496 Depth=2
	s_or_b64 exec, exec, s[36:37]
	s_orn2_b64 s[28:29], vcc, exec
.LBB6_519:                              ;   in Loop: Header=BB6_496 Depth=2
	s_or_b64 exec, exec, s[34:35]
	s_and_saveexec_b64 vcc, s[28:29]
; %bb.520:                              ;   in Loop: Header=BB6_496 Depth=2
	v_mul_lo_u32 v3, v9, v30
	v_mul_lo_u32 v5, v4, v45
	v_mad_u64_u32 v[10:11], s[28:29], v4, v30, 0
	v_add3_u32 v11, v11, v5, v3
; %bb.521:                              ;   in Loop: Header=BB6_496 Depth=2
	s_or_b64 exec, exec, vcc
	v_lshlrev_b64 v[4:5], 2, v[10:11]
	v_add_co_u32_e32 v4, vcc, v36, v4
	v_addc_co_u32_e32 v5, vcc, v37, v5, vcc
	v_and_b32_e32 v3, 0x2000, v62
	v_cmp_ne_u32_e32 vcc, 0, v3
	s_trap 2
	ds_write_b64 v0, v[4:5]
	s_and_saveexec_b64 s[28:29], vcc
	s_cbranch_execz .LBB6_523
; %bb.522:                              ;   in Loop: Header=BB6_496 Depth=2
	ds_read_b64 v[4:5], v0 offset:584
	s_waitcnt lgkmcnt(0)
	v_add_co_u32_e32 v4, vcc, 1, v4
	v_addc_co_u32_e32 v5, vcc, 0, v5, vcc
	ds_write_b64 v0, v[4:5] offset:584
.LBB6_523:                              ;   in Loop: Header=BB6_496 Depth=2
	s_or_b64 exec, exec, s[28:29]
	v_add_co_u32_e32 v32, vcc, 2, v32
	v_addc_co_u32_e32 v33, vcc, 0, v33, vcc
.LBB6_524:                              ;   in Loop: Header=BB6_496 Depth=2
	s_or_b64 exec, exec, s[30:31]
	s_and_saveexec_b64 s[28:29], s[10:11]
	s_cbranch_execz .LBB6_543
; %bb.525:                              ;   in Loop: Header=BB6_496 Depth=2
	s_and_saveexec_b64 vcc, s[52:53]
	s_xor_b64 s[30:31], exec, vcc
	s_cbranch_execz .LBB6_540
; %bb.526:                              ;   in Loop: Header=BB6_496 Depth=2
	s_and_saveexec_b64 s[34:35], s[16:17]
	s_cbranch_execz .LBB6_539
; %bb.527:                              ;   in Loop: Header=BB6_496 Depth=2
	s_mov_b64 s[38:39], exec
	v_mbcnt_lo_u32_b32 v3, s38, 0
	v_mbcnt_hi_u32_b32 v3, s39, v3
	v_cmp_eq_u32_e32 vcc, 0, v3
	s_waitcnt vmcnt(0) lgkmcnt(0)
	buffer_wbinvl1_vol
	s_and_saveexec_b64 s[36:37], vcc
	s_cbranch_execz .LBB6_529
; %bb.528:                              ;   in Loop: Header=BB6_496 Depth=2
	s_bcnt1_i32_b64 vcc_lo, s[38:39]
	v_mov_b32_e32 v4, vcc_lo
	v_mov_b32_e32 v5, v52
	ds_add_u64 v0, v[4:5]
	s_trap 2
.LBB6_529:                              ;   in Loop: Header=BB6_496 Depth=2
	s_or_b64 exec, exec, s[36:37]
	s_trap 2
	ds_read_b64 v[4:5], v0
	v_add_co_u32_e32 v48, vcc, v48, v54
	v_addc_co_u32_e32 v49, vcc, 0, v49, vcc
	s_waitcnt lgkmcnt(0)
	v_cmp_lt_u64_e32 vcc, v[4:5], v[48:49]
	s_and_saveexec_b64 s[36:37], vcc
	s_cbranch_execz .LBB6_538
; %bb.530:                              ;   in Loop: Header=BB6_496 Depth=2
	s_mov_b32 s68, 0
	s_mov_b64 s[38:39], 0
                                        ; implicit-def: $sgpr40_sgpr41
                                        ; implicit-def: $sgpr42_sgpr43
	s_branch .LBB6_532
.LBB6_531:                              ;   in Loop: Header=BB6_532 Depth=3
	s_or_b64 exec, exec, s[66:67]
	s_and_b64 vcc, exec, vcc
	s_or_b64 s[38:39], vcc, s[38:39]
	s_andn2_b64 vcc, s[40:41], exec
	s_and_b64 s[40:41], s[42:43], exec
	s_or_b64 s[40:41], vcc, s[40:41]
	s_andn2_b64 exec, exec, s[38:39]
	s_cbranch_execz .LBB6_536
.LBB6_532:                              ;   Parent Loop BB6_47 Depth=1
                                        ;     Parent Loop BB6_496 Depth=2
                                        ; =>    This Inner Loop Header: Depth=3
	s_add_i32 s68, s68, 1
	s_cmpk_lg_i32 s68, 0x2710
	s_cselect_b64 s[44:45], -1, 0
	s_and_b64 vcc, exec, s[44:45]
                                        ; implicit-def: $sgpr66_sgpr67
	s_cbranch_vccnz .LBB6_534
; %bb.533:                              ;   in Loop: Header=BB6_532 Depth=3
	s_trap 2
	ds_read_b64 v[4:5], v0
	s_andn2_b64 s[44:45], s[44:45], exec
	s_mov_b32 s68, 0
	s_mov_b64 s[66:67], -1
	s_waitcnt lgkmcnt(0)
	flat_load_dword v3, v[4:5] glc
	s_waitcnt vmcnt(0) lgkmcnt(0)
	buffer_invl2
	buffer_wbinvl1_vol
	v_cmp_eq_u32_e32 vcc, 0, v3
	s_and_b64 vcc, vcc, exec
	s_or_b64 s[44:45], s[44:45], vcc
.LBB6_534:                              ;   in Loop: Header=BB6_532 Depth=3
	s_andn2_b64 s[42:43], s[42:43], exec
	s_and_b64 s[66:67], s[66:67], exec
	s_mov_b64 vcc, -1
	s_or_b64 s[42:43], s[42:43], s[66:67]
	s_and_saveexec_b64 s[66:67], s[44:45]
	s_cbranch_execz .LBB6_531
; %bb.535:                              ;   in Loop: Header=BB6_532 Depth=3
	s_sleep 1
	s_trap 2
	ds_read_b64 v[4:5], v0
	s_andn2_b64 s[42:43], s[42:43], exec
	s_waitcnt lgkmcnt(0)
	v_cmp_ge_u64_e32 vcc, v[4:5], v[48:49]
	s_orn2_b64 vcc, vcc, exec
	s_branch .LBB6_531
.LBB6_536:                              ;   in Loop: Header=BB6_496 Depth=2
	s_or_b64 exec, exec, s[38:39]
	s_and_saveexec_b64 vcc, s[40:41]
	s_xor_b64 vcc, exec, vcc
	s_cbranch_execz .LBB6_538
; %bb.537:                              ;   in Loop: Header=BB6_496 Depth=2
	ds_write_b32 v0, v57
	s_trap 2
.LBB6_538:                              ;   in Loop: Header=BB6_496 Depth=2
	s_or_b64 exec, exec, s[36:37]
	;;#ASMSTART
	s_wakeup
	;;#ASMEND
.LBB6_539:                              ;   in Loop: Header=BB6_496 Depth=2
	s_or_b64 exec, exec, s[34:35]
.LBB6_540:                              ;   in Loop: Header=BB6_496 Depth=2
	s_andn2_saveexec_b64 vcc, s[30:31]
	s_cbranch_execz .LBB6_542
; %bb.541:                              ;   in Loop: Header=BB6_496 Depth=2
	s_waitcnt vmcnt(0) lgkmcnt(0)
	buffer_wbinvl1_vol
	s_barrier
.LBB6_542:                              ;   in Loop: Header=BB6_496 Depth=2
	s_or_b64 exec, exec, vcc
.LBB6_543:                              ;   in Loop: Header=BB6_496 Depth=2
	s_or_b64 exec, exec, s[28:29]
	s_trap 2
	ds_read_b32 v8, v0
	v_and_b32_e32 v3, 0x4000, v62
	v_cmp_ne_u32_e32 vcc, 0, v3
	s_xor_b64 s[28:29], s[6:7], -1
	s_and_b64 vcc, s[28:29], vcc
	s_and_saveexec_b64 s[28:29], vcc
	s_cbranch_execz .LBB6_562
; %bb.544:                              ;   in Loop: Header=BB6_496 Depth=2
	s_and_saveexec_b64 vcc, s[52:53]
	s_xor_b64 s[30:31], exec, vcc
	s_cbranch_execz .LBB6_559
; %bb.545:                              ;   in Loop: Header=BB6_496 Depth=2
	s_and_saveexec_b64 s[34:35], s[16:17]
	s_cbranch_execz .LBB6_558
; %bb.546:                              ;   in Loop: Header=BB6_496 Depth=2
	s_mov_b64 s[38:39], exec
	v_mbcnt_lo_u32_b32 v3, s38, 0
	v_mbcnt_hi_u32_b32 v3, s39, v3
	v_cmp_eq_u32_e32 vcc, 0, v3
	s_waitcnt vmcnt(0) lgkmcnt(0)
	buffer_wbinvl1_vol
	s_and_saveexec_b64 s[36:37], vcc
	s_cbranch_execz .LBB6_548
; %bb.547:                              ;   in Loop: Header=BB6_496 Depth=2
	s_bcnt1_i32_b64 vcc_lo, s[38:39]
	v_mov_b32_e32 v4, vcc_lo
	v_mov_b32_e32 v5, v52
	ds_add_u64 v0, v[4:5]
	s_trap 2
.LBB6_548:                              ;   in Loop: Header=BB6_496 Depth=2
	s_or_b64 exec, exec, s[36:37]
	s_trap 2
	ds_read_b64 v[4:5], v0
	v_add_co_u32_e32 v48, vcc, v48, v54
	v_addc_co_u32_e32 v49, vcc, 0, v49, vcc
	s_waitcnt lgkmcnt(0)
	v_cmp_lt_u64_e32 vcc, v[4:5], v[48:49]
	s_and_saveexec_b64 s[36:37], vcc
	s_cbranch_execz .LBB6_557
; %bb.549:                              ;   in Loop: Header=BB6_496 Depth=2
	s_mov_b32 s68, 0
	s_mov_b64 s[38:39], 0
                                        ; implicit-def: $sgpr40_sgpr41
                                        ; implicit-def: $sgpr42_sgpr43
	s_branch .LBB6_551
.LBB6_550:                              ;   in Loop: Header=BB6_551 Depth=3
	s_or_b64 exec, exec, s[66:67]
	s_and_b64 vcc, exec, vcc
	s_or_b64 s[38:39], vcc, s[38:39]
	s_andn2_b64 vcc, s[40:41], exec
	s_and_b64 s[40:41], s[42:43], exec
	s_or_b64 s[40:41], vcc, s[40:41]
	s_andn2_b64 exec, exec, s[38:39]
	s_cbranch_execz .LBB6_555
.LBB6_551:                              ;   Parent Loop BB6_47 Depth=1
                                        ;     Parent Loop BB6_496 Depth=2
                                        ; =>    This Inner Loop Header: Depth=3
	s_add_i32 s68, s68, 1
	s_cmpk_lg_i32 s68, 0x2710
	s_cselect_b64 s[44:45], -1, 0
	s_and_b64 vcc, exec, s[44:45]
                                        ; implicit-def: $sgpr66_sgpr67
	s_cbranch_vccnz .LBB6_553
; %bb.552:                              ;   in Loop: Header=BB6_551 Depth=3
	s_trap 2
	ds_read_b64 v[4:5], v0
	s_andn2_b64 s[44:45], s[44:45], exec
	s_mov_b32 s68, 0
	s_mov_b64 s[66:67], -1
	s_waitcnt lgkmcnt(0)
	flat_load_dword v3, v[4:5] glc
	s_waitcnt vmcnt(0) lgkmcnt(0)
	buffer_invl2
	buffer_wbinvl1_vol
	v_cmp_eq_u32_e32 vcc, 0, v3
	s_and_b64 vcc, vcc, exec
	s_or_b64 s[44:45], s[44:45], vcc
.LBB6_553:                              ;   in Loop: Header=BB6_551 Depth=3
	s_andn2_b64 s[42:43], s[42:43], exec
	s_and_b64 s[66:67], s[66:67], exec
	s_mov_b64 vcc, -1
	s_or_b64 s[42:43], s[42:43], s[66:67]
	s_and_saveexec_b64 s[66:67], s[44:45]
	s_cbranch_execz .LBB6_550
; %bb.554:                              ;   in Loop: Header=BB6_551 Depth=3
	s_sleep 1
	s_trap 2
	ds_read_b64 v[4:5], v0
	s_andn2_b64 s[42:43], s[42:43], exec
	s_waitcnt lgkmcnt(0)
	v_cmp_ge_u64_e32 vcc, v[4:5], v[48:49]
	s_orn2_b64 vcc, vcc, exec
	s_branch .LBB6_550
.LBB6_555:                              ;   in Loop: Header=BB6_496 Depth=2
	s_or_b64 exec, exec, s[38:39]
	s_and_saveexec_b64 vcc, s[40:41]
	s_xor_b64 vcc, exec, vcc
	s_cbranch_execz .LBB6_557
; %bb.556:                              ;   in Loop: Header=BB6_496 Depth=2
	ds_write_b32 v0, v57
	s_trap 2
.LBB6_557:                              ;   in Loop: Header=BB6_496 Depth=2
	s_or_b64 exec, exec, s[36:37]
	;;#ASMSTART
	s_wakeup
	;;#ASMEND
.LBB6_558:                              ;   in Loop: Header=BB6_496 Depth=2
	s_or_b64 exec, exec, s[34:35]
.LBB6_559:                              ;   in Loop: Header=BB6_496 Depth=2
	s_andn2_saveexec_b64 vcc, s[30:31]
	s_cbranch_execz .LBB6_561
; %bb.560:                              ;   in Loop: Header=BB6_496 Depth=2
	s_waitcnt vmcnt(0) lgkmcnt(0)
	buffer_wbinvl1_vol
	s_barrier
.LBB6_561:                              ;   in Loop: Header=BB6_496 Depth=2
	s_or_b64 exec, exec, vcc
.LBB6_562:                              ;   in Loop: Header=BB6_496 Depth=2
	s_or_b64 exec, exec, s[28:29]
	s_trap 2
	ds_read_b64 v[4:5], v0
	v_mov_b32_e32 v25, 0
	s_waitcnt lgkmcnt(0)
	v_readfirstlane_b32 s28, v4
	v_readfirstlane_b32 s29, v5
	s_cmp_eq_u64 s[28:29], 0
	s_cselect_b64 s[28:29], -1, 0
	s_or_b64 s[28:29], s[28:29], s[28:29]
	s_and_b64 vcc, exec, s[28:29]
	s_cbranch_vccnz .LBB6_631
; %bb.563:                              ;   in Loop: Header=BB6_496 Depth=2
	s_trap 2
	ds_read_b64 v[4:5], v0
	v_cmp_eq_u32_e32 vcc, 0, v8
	v_cndmask_b32_e32 v25, 0, v2, vcc
	v_lshlrev_b32_e32 v38, 2, v25
	s_waitcnt lgkmcnt(0)
	v_cmp_ne_u64_e32 vcc, 0, v[4:5]
	s_cbranch_vccz .LBB6_585
; %bb.564:                              ;   in Loop: Header=BB6_496 Depth=2
	s_mov_b64 s[30:31], -1
	s_and_saveexec_b64 s[28:29], s[24:25]
	s_cbranch_execz .LBB6_566
; %bb.565:                              ;   in Loop: Header=BB6_496 Depth=2
	ds_read_b32 v5, v0 offset:720
	s_waitcnt lgkmcnt(0)
	v_and_b32_e32 v5, 15, v5
	v_cmp_eq_u32_e32 vcc, 0, v5
	s_orn2_b64 s[30:31], vcc, exec
.LBB6_566:                              ;   in Loop: Header=BB6_496 Depth=2
	s_or_b64 exec, exec, s[28:29]
	s_and_saveexec_b64 s[28:29], s[24:25]
	s_cbranch_execz .LBB6_568
; %bb.567:                              ;   in Loop: Header=BB6_496 Depth=2
	ds_read_b32 v5, v0 offset:784
	s_waitcnt lgkmcnt(0)
	v_and_b32_e32 v5, 15, v5
	v_cmp_eq_u32_e32 vcc, 0, v5
	s_and_b64 vcc, s[30:31], vcc
	s_andn2_b64 s[30:31], s[30:31], exec
	s_and_b64 vcc, vcc, exec
	s_or_b64 s[30:31], s[30:31], vcc
.LBB6_568:                              ;   in Loop: Header=BB6_496 Depth=2
	s_or_b64 exec, exec, s[28:29]
	s_xor_b64 vcc, s[30:31], -1
	v_cndmask_b32_e64 v5, 0, 1, vcc
	s_mov_b64 s[28:29], -1
	;;#ASMSTART
	;;#ASMEND
	v_cmp_ne_u32_e32 vcc, 0, v5
	s_cbranch_vccz .LBB6_586
; %bb.569:                              ;   in Loop: Header=BB6_496 Depth=2
	v_alignbit_b32 v5, v4, v4, 1
	v_readfirstlane_b32 s28, v5
	s_and_b32 s88, s28, 0x7fffffff
	s_mov_b64 s[66:67], -1
	s_mov_b32 s30, 0
	s_cbranch_execnz .LBB6_587
.LBB6_570:                              ;   in Loop: Header=BB6_496 Depth=2
	v_ashrrev_i32_e32 v5, 31, v38
	v_lshrrev_b32_e32 v5, 21, v5
	v_add_u32_e32 v5, v38, v5
	v_ashrrev_i32_e32 v3, 11, v5
	v_alignbit_b32 v5, v4, v4, 1
	v_readfirstlane_b32 s28, v5
	v_sub_u32_e32 v53, v3, v59
	s_and_b32 s88, s28, 0x7fffffff
	v_cmp_lt_i32_e32 vcc, 0, v53
	s_and_saveexec_b64 s[68:69], vcc
	s_cbranch_execz .LBB6_574
; %bb.571:                              ;   in Loop: Header=BB6_496 Depth=2
	v_cvt_f32_u32_e32 v8, s88
	s_trap 2
	s_sub_i32 s28, 0, s88
	v_accvgpr_write_b32 a39, v3
	v_rcp_iflag_f32_e32 v12, v8
	ds_read_b128 v[8:11], v0
	v_accvgpr_read_b32 v3, a27
	v_accvgpr_write_b32 a38, v38
	v_mul_f32_e32 v12, 0x4f7ffffe, v12
	v_cvt_u32_f32_e32 v12, v12
	s_waitcnt lgkmcnt(0)
	v_add_co_u32_e32 v26, vcc, v8, v6
	v_addc_co_u32_e32 v27, vcc, v9, v3, vcc
	v_readfirstlane_b32 s29, v12
	s_mul_i32 s28, s28, s29
	s_mul_hi_u32 s28, s29, s28
	s_add_i32 s29, s29, s28
	s_mul_hi_u32 s28, s29, -1
	s_mul_i32 s29, s28, s88
	s_not_b32 s29, s29
	s_add_i32 vcc_lo, s28, 1
	s_sub_i32 vcc_hi, s29, s88
	s_cmp_ge_u32 s29, s88
	s_cselect_b32 s28, vcc_lo, s28
	s_cselect_b32 s29, vcc_hi, s29
	s_add_i32 vcc_lo, s28, 1
	s_cmp_ge_u32 s29, s88
	s_cselect_b32 s89, vcc_lo, s28
	v_add_co_u32_e32 v40, vcc, v10, v6
	v_addc_co_u32_e32 v41, vcc, v11, v3, vcc
	v_accvgpr_write_b32 a26, v25
	v_accvgpr_write_b32 a19, v59
	;; [unrolled: 1-line block ×3, first 2 shown]
	s_mov_b64 s[70:71], 0
	v_pk_mov_b32 v[58:59], v[26:27], v[26:27] op_sel:[0,1]
	v_pk_mov_b32 v[56:57], v[40:41], v[40:41] op_sel:[0,1]
.LBB6_572:                              ;   Parent Loop BB6_47 Depth=1
                                        ;     Parent Loop BB6_496 Depth=2
                                        ; =>    This Inner Loop Header: Depth=3
	global_load_dwordx4 v[16:19], v[40:41], off glc slc
	global_load_dwordx4 v[20:23], v[26:27], off glc slc
	global_load_dwordx4 v[8:11], v[26:27], off offset:1024 glc slc
	global_load_dwordx4 v[12:15], v[40:41], off offset:1024 glc slc
	v_add_co_u32_e32 v26, vcc, v26, v42
	v_addc_co_u32_e32 v27, vcc, v27, v31, vcc
	v_add_co_u32_e32 v40, vcc, v40, v42
	v_addc_co_u32_e32 v41, vcc, v41, v31, vcc
	v_sub_u32_e32 v53, v53, v54
	v_cmp_gt_i32_e32 vcc, 1, v53
	s_or_b64 s[70:71], vcc, s[70:71]
	s_waitcnt vmcnt(0)
	v_add_u32_e32 v16, v16, v20
	v_add_co_u32_e32 v20, vcc, 0, v20
	v_addc_co_u32_e32 v17, vcc, v17, v21, vcc
	v_add_co_u32_e32 v20, vcc, 0, v22
	v_addc_co_u32_e32 v19, vcc, v19, v23, vcc
	v_add_u32_e32 v12, v12, v8
	v_add_co_u32_e32 v8, vcc, 0, v8
	v_addc_co_u32_e32 v8, vcc, v13, v9, vcc
	v_add_u32_e32 v9, v14, v10
	v_add_co_u32_e32 v10, vcc, 0, v10
	v_addc_co_u32_e32 v10, vcc, v15, v11, vcc
	v_and_b32_e32 v11, v5, v16
	v_sub_u32_e32 v13, 0, v16
	v_and_b32_e32 v3, v5, v10
	v_cmp_lt_i32_e32 vcc, -1, v11
	v_add_u32_e32 v18, v18, v22
	v_and_b32_e32 v14, v5, v17
	v_and_b32_e32 v22, v5, v19
	v_sub_u32_e32 v25, 0, v10
	v_cndmask_b32_e32 v11, v13, v16, vcc
	v_cmp_lt_i32_e64 s[42:43], -1, v3
	v_sub_u32_e32 v15, 0, v17
	v_sub_u32_e32 v23, 0, v19
	v_cmp_lt_i32_e64 s[28:29], -1, v14
	v_cmp_lt_i32_e64 s[34:35], -1, v22
	v_cndmask_b32_e64 v3, v25, v10, s[42:43]
	v_mul_hi_u32 v10, v11, s89
	v_and_b32_e32 v20, v5, v18
	v_cndmask_b32_e64 v13, v15, v17, s[28:29]
	v_cndmask_b32_e64 v15, v23, v19, s[34:35]
	v_mul_lo_u32 v23, s88, v10
	v_sub_u32_e32 v21, 0, v18
	v_cmp_lt_i32_e64 s[30:31], -1, v20
	v_mul_hi_u32 v16, v13, s89
	v_sub_u32_e32 v11, v11, v23
	v_cndmask_b32_e64 v14, v21, v18, s[30:31]
	v_mul_lo_u32 v25, s88, v16
	v_cmp_le_u32_e64 s[44:45], s88, v11
	v_and_b32_e32 v38, v5, v12
	v_mul_hi_u32 v17, v14, s89
	v_sub_u32_e32 v13, v13, v25
	v_addc_co_u32_e64 v10, s[44:45], 0, v10, s[44:45]
	v_cmp_lt_i32_e64 s[36:37], -1, v38
	v_mul_lo_u32 v38, s88, v17
	v_cmp_le_u32_e64 s[44:45], s88, v13
	v_sub_u32_e32 v39, 0, v12
	v_mul_hi_u32 v18, v15, s89
	v_sub_u32_e32 v14, v14, v38
	v_addc_co_u32_e64 v11, s[44:45], 0, v16, s[44:45]
	v_and_b32_e32 v44, v5, v8
	v_cndmask_b32_e64 v12, v39, v12, s[36:37]
	v_mul_lo_u32 v39, s88, v18
	v_cmp_le_u32_e64 s[44:45], s88, v14
	v_sub_u32_e32 v45, 0, v8
	v_cmp_lt_i32_e64 s[38:39], -1, v44
	v_mul_hi_u32 v19, v12, s89
	v_sub_u32_e32 v15, v15, v39
	v_addc_co_u32_e64 v13, s[44:45], 0, v17, s[44:45]
	v_and_b32_e32 v46, v5, v9
	v_cndmask_b32_e64 v8, v45, v8, s[38:39]
	v_mul_lo_u32 v44, s88, v19
	v_cmp_le_u32_e64 s[44:45], s88, v15
	v_sub_u32_e32 v47, 0, v9
	v_cmp_lt_i32_e64 s[40:41], -1, v46
	v_mul_hi_u32 v20, v8, s89
	v_sub_u32_e32 v12, v12, v44
	v_addc_co_u32_e64 v14, s[44:45], 0, v18, s[44:45]
	v_cndmask_b32_e64 v9, v47, v9, s[40:41]
	v_mul_lo_u32 v45, s88, v20
	v_cmp_le_u32_e64 s[44:45], s88, v12
	v_mul_hi_u32 v21, v9, s89
	v_sub_u32_e32 v8, v8, v45
	v_addc_co_u32_e64 v12, s[44:45], 0, v19, s[44:45]
	v_mul_lo_u32 v46, s88, v21
	v_cmp_le_u32_e64 s[44:45], s88, v8
	v_mul_hi_u32 v22, v3, s89
	v_sub_u32_e32 v9, v9, v46
	v_addc_co_u32_e64 v15, s[44:45], 0, v20, s[44:45]
	v_mul_lo_u32 v47, s88, v22
	v_cmp_le_u32_e64 s[44:45], s88, v9
	v_sub_u32_e32 v3, v3, v47
	v_addc_co_u32_e64 v16, s[44:45], 0, v21, s[44:45]
	v_cmp_le_u32_e64 s[44:45], s88, v3
	v_addc_co_u32_e64 v3, s[44:45], 0, v22, s[44:45]
	v_sub_u32_e32 v8, 0, v10
	v_sub_u32_e32 v9, 0, v11
	;; [unrolled: 1-line block ×8, first 2 shown]
	v_cndmask_b32_e32 v8, v8, v10, vcc
	v_cndmask_b32_e64 v9, v9, v11, s[28:29]
	v_cndmask_b32_e64 v10, v17, v13, s[30:31]
	;; [unrolled: 1-line block ×7, first 2 shown]
	global_store_dwordx4 v[58:59], v[8:11], off glc slc
	global_store_dwordx4 v[58:59], v[12:15], off offset:1024 glc slc
	global_store_dwordx4 v[56:57], v[8:11], off glc slc
	global_store_dwordx4 v[56:57], v[12:15], off offset:1024 glc slc
	v_add_co_u32_e32 v58, vcc, v58, v42
	v_addc_co_u32_e32 v59, vcc, v59, v31, vcc
	v_add_co_u32_e32 v56, vcc, v56, v42
	v_addc_co_u32_e32 v57, vcc, v57, v31, vcc
	s_andn2_b64 exec, exec, s[70:71]
	s_cbranch_execnz .LBB6_572
; %bb.573:                              ;   in Loop: Header=BB6_496 Depth=2
	s_or_b64 exec, exec, s[70:71]
	buffer_load_dword v20, off, s[0:3], s33 offset:92 ; 4-byte Folded Reload
	buffer_load_dword v21, off, s[0:3], s33 offset:96 ; 4-byte Folded Reload
	v_accvgpr_read_b32 v47, a13
	v_accvgpr_read_b32 v58, a3
	;; [unrolled: 1-line block ×7, first 2 shown]
	v_mov_b32_e32 v57, 1
	v_accvgpr_read_b32 v44, a22
	v_accvgpr_read_b32 v25, a26
	;; [unrolled: 1-line block ×4, first 2 shown]
.LBB6_574:                              ;   in Loop: Header=BB6_496 Depth=2
	s_or_b64 exec, exec, s[68:69]
	v_lshlrev_b32_e32 v26, 11, v3
	v_cmp_ne_u32_e32 vcc, v38, v26
                                        ; implicit-def: $vgpr17
                                        ; implicit-def: $vgpr16
                                        ; implicit-def: $vgpr18
                                        ; implicit-def: $vgpr8
	s_and_saveexec_b64 s[40:41], vcc
	s_cbranch_execz .LBB6_584
; %bb.575:                              ;   in Loop: Header=BB6_496 Depth=2
	v_lshlrev_b32_e32 v8, 6, v53
	v_accvgpr_read_b32 v9, a20
	v_sub_u32_e32 v8, v9, v8
	v_ashrrev_i32_e32 v9, 31, v8
	v_lshrrev_b32_e32 v9, 26, v9
	v_add_u32_e32 v9, v8, v9
	v_sub_u32_e32 v3, v38, v26
	v_ashrrev_i32_e32 v10, 6, v9
	v_and_b32_e32 v9, 0xffffffc0, v9
	v_sub_u32_e32 v27, v8, v9
	v_ashrrev_i32_e32 v9, 31, v3
	v_lshrrev_b32_e32 v9, 22, v9
	v_add_u32_e32 v9, v3, v9
	v_and_b32_e32 v53, 0xfffffc00, v9
	v_lshlrev_b32_e32 v8, 4, v27
	v_sub_u32_e32 v41, v3, v53
	v_lshl_add_u32 v8, v10, 10, v8
	v_ashrrev_i32_e32 v11, 10, v9
	v_cmp_lt_i32_e64 s[28:29], 15, v41
	v_sub_u32_e32 v56, v3, v8
	v_addc_co_u32_e64 v3, vcc, 0, v11, s[28:29]
	v_accvgpr_write_b32 a3, v25
	v_sub_u32_e32 v40, v3, v10
	v_cmp_lt_i32_e32 vcc, 15, v56
	s_and_saveexec_b64 s[42:43], vcc
	s_cbranch_execz .LBB6_581
; %bb.576:                              ;   in Loop: Header=BB6_496 Depth=2
	v_cvt_f32_u32_e32 v3, s88
	s_sub_i32 vcc_lo, 0, s88
	v_add_u32_e32 v12, v8, v26
	s_trap 2
	v_rcp_iflag_f32_e32 v3, v3
	ds_read_b128 v[8:11], v0
	v_ashrrev_i32_e32 v13, 31, v12
	v_accvgpr_write_b32 a19, v38
	v_mul_f32_e32 v3, 0x4f7ffffe, v3
	v_cvt_u32_f32_e32 v3, v3
	s_mov_b64 s[44:45], 0
	v_readfirstlane_b32 vcc_hi, v3
	s_mul_i32 vcc_lo, vcc_lo, vcc_hi
	s_mul_hi_u32 vcc_lo, vcc_hi, vcc_lo
	s_add_i32 vcc_hi, vcc_hi, vcc_lo
	s_mul_hi_u32 vcc_lo, vcc_hi, -1
	s_mul_i32 vcc_hi, vcc_lo, s88
	s_not_b32 vcc_hi, vcc_hi
	s_add_i32 s30, vcc_lo, 1
	s_sub_i32 s31, vcc_hi, s88
	s_cmp_ge_u32 vcc_hi, s88
	s_cselect_b32 vcc_lo, s30, vcc_lo
	s_cselect_b32 vcc_hi, s31, vcc_hi
	s_add_i32 s30, vcc_lo, 1
	s_cmp_ge_u32 vcc_hi, s88
	s_cselect_b32 s70, s30, vcc_lo
	s_waitcnt lgkmcnt(0)
	v_add_co_u32_e32 v16, vcc, v8, v12
	v_addc_co_u32_e32 v17, vcc, v9, v13, vcc
	v_add_co_u32_e32 v18, vcc, v10, v12
	v_addc_co_u32_e32 v19, vcc, v11, v13, vcc
	s_waitcnt vmcnt(0)
	v_pk_mov_b32 v[20:21], v[16:17], v[16:17] op_sel:[0,1]
	v_pk_mov_b32 v[22:23], v[18:19], v[18:19] op_sel:[0,1]
.LBB6_577:                              ;   Parent Loop BB6_47 Depth=1
                                        ;     Parent Loop BB6_496 Depth=2
                                        ; =>    This Loop Header: Depth=3
                                        ;         Child Loop BB6_578 Depth 4
	global_load_dwordx4 v[8:11], v[20:21], off glc slc
	global_load_dwordx4 v[12:15], v[22:23], off glc slc
	s_mov_b64 s[68:69], -1
	s_waitcnt vmcnt(0)
	v_add_u32_e32 v3, v12, v8
	v_add_co_u32_e32 v8, vcc, 0, v8
	v_addc_co_u32_e32 v8, vcc, v13, v9, vcc
	v_add_u32_e32 v9, v14, v10
	v_add_co_u32_e32 v10, vcc, 0, v10
	v_addc_co_u32_e32 v10, vcc, v15, v11, vcc
	v_and_b32_e32 v11, v5, v3
	v_sub_u32_e32 v12, 0, v3
	v_cmp_lt_i32_e32 vcc, -1, v11
	v_and_b32_e32 v13, v5, v8
	v_cndmask_b32_e32 v3, v12, v3, vcc
	v_sub_u32_e32 v14, 0, v8
	v_and_b32_e32 v15, v5, v9
	v_cmp_lt_i32_e64 s[30:31], -1, v13
	v_mul_hi_u32 v11, v3, s70
	v_cndmask_b32_e64 v8, v14, v8, s[30:31]
	v_cmp_lt_i32_e64 s[34:35], -1, v15
	v_mul_lo_u32 v15, s88, v11
	v_sub_u32_e32 v25, 0, v9
	v_mul_hi_u32 v12, v8, s70
	v_sub_u32_e32 v3, v3, v15
	v_and_b32_e32 v38, v5, v10
	v_cndmask_b32_e64 v9, v25, v9, s[34:35]
	v_mul_lo_u32 v25, s88, v12
	v_cmp_le_u32_e64 s[38:39], s88, v3
	v_sub_u32_e32 v39, 0, v10
	v_cmp_lt_i32_e64 s[36:37], -1, v38
	v_mul_hi_u32 v13, v9, s70
	v_sub_u32_e32 v8, v8, v25
	v_addc_co_u32_e64 v3, s[38:39], 0, v11, s[38:39]
	v_cndmask_b32_e64 v10, v39, v10, s[36:37]
	v_mul_lo_u32 v38, s88, v13
	v_cmp_le_u32_e64 s[38:39], s88, v8
	v_mul_hi_u32 v14, v10, s70
	v_sub_u32_e32 v9, v9, v38
	v_addc_co_u32_e64 v11, s[38:39], 0, v12, s[38:39]
	v_mul_lo_u32 v39, s88, v14
	v_cmp_le_u32_e64 s[38:39], s88, v9
	v_sub_u32_e32 v10, v10, v39
	v_addc_co_u32_e64 v12, s[38:39], 0, v13, s[38:39]
	v_cmp_le_u32_e64 s[38:39], s88, v10
	v_addc_co_u32_e64 v13, s[38:39], 0, v14, s[38:39]
	v_sub_u32_e32 v8, 0, v3
	v_sub_u32_e32 v9, 0, v11
	;; [unrolled: 1-line block ×4, first 2 shown]
	v_cndmask_b32_e32 v8, v8, v3, vcc
	v_cndmask_b32_e64 v9, v9, v11, s[30:31]
	v_cndmask_b32_e64 v10, v10, v12, s[34:35]
	;; [unrolled: 1-line block ×3, first 2 shown]
	s_mov_b64 s[38:39], 0
.LBB6_578:                              ;   Parent Loop BB6_47 Depth=1
                                        ;     Parent Loop BB6_496 Depth=2
                                        ;       Parent Loop BB6_577 Depth=3
                                        ; =>      This Inner Loop Header: Depth=4
	s_cmp_eq_u32 s38, 0
	s_cselect_b64 s[30:31], -1, 0
	s_cmp_eq_u32 s38, 1
	s_cselect_b64 s[36:37], -1, 0
	v_cndmask_b32_e64 v3, 0, 1, s[68:69]
	v_cndmask_b32_e64 v12, v16, v18, s[36:37]
	v_cmp_ne_u32_e64 s[34:35], 1, v3
	v_cndmask_b32_e64 v13, v17, v19, s[36:37]
	v_add_co_u32_e32 v3, vcc, 0x400, v12
	global_store_dwordx4 v[12:13], v[8:11], off glc slc
	v_addc_co_u32_e32 v12, vcc, 0, v13, vcc
	s_mov_b64 s[68:69], 0
	s_mov_b64 s[38:39], 1
	v_cndmask_b32_e64 v18, v18, v3, s[36:37]
	s_and_b64 vcc, exec, s[34:35]
	v_cndmask_b32_e64 v19, v19, v12, s[36:37]
	v_cndmask_b32_e64 v17, v17, v12, s[30:31]
	;; [unrolled: 1-line block ×3, first 2 shown]
	s_cbranch_vccz .LBB6_578
; %bb.579:                              ;   in Loop: Header=BB6_577 Depth=3
	v_add_co_u32_e32 v20, vcc, v20, v1
	v_addc_co_u32_e32 v21, vcc, v21, v0, vcc
	v_add_co_u32_e32 v22, vcc, v22, v1
	v_addc_co_u32_e32 v23, vcc, v23, v0, vcc
	v_accvgpr_read_b32 v8, a14
	v_add_co_u32_e32 v16, vcc, v16, v8
	v_accvgpr_read_b32 v3, a21
	v_addc_co_u32_e32 v17, vcc, v17, v3, vcc
	v_add_co_u32_e32 v18, vcc, v18, v8
	v_addc_co_u32_e32 v19, vcc, v19, v3, vcc
	v_sub_u32_e32 v56, v56, v55
	v_cmp_gt_i32_e32 vcc, 16, v56
	s_or_b64 s[44:45], vcc, s[44:45]
	v_sub_u32_e32 v40, v40, v54
	s_andn2_b64 exec, exec, s[44:45]
	s_cbranch_execnz .LBB6_577
; %bb.580:                              ;   in Loop: Header=BB6_496 Depth=2
	s_or_b64 exec, exec, s[44:45]
	buffer_load_dword v20, off, s[0:3], s33 offset:92 ; 4-byte Folded Reload
	buffer_load_dword v21, off, s[0:3], s33 offset:96 ; 4-byte Folded Reload
	v_accvgpr_read_b32 v39, a23
	v_accvgpr_read_b32 v38, a19
.LBB6_581:                              ;   in Loop: Header=BB6_496 Depth=2
	s_or_b64 exec, exec, s[42:43]
	v_and_b32_e32 v9, 12, v38
	v_cndmask_b32_e64 v17, v41, v9, s[28:29]
	v_cmp_ne_u32_e32 vcc, 0, v17
	s_mov_b64 s[30:31], s[66:67]
                                        ; implicit-def: $vgpr16
                                        ; implicit-def: $vgpr18
                                        ; implicit-def: $vgpr8
	s_and_saveexec_b64 s[34:35], vcc
	s_cbranch_execz .LBB6_583
; %bb.582:                              ;   in Loop: Header=BB6_496 Depth=2
	v_sub_u32_e32 v3, v41, v9
	v_cndmask_b32_e64 v3, 0, v3, s[28:29]
	v_cmp_lt_i32_e32 vcc, 0, v40
	v_add3_u32 v16, v53, v26, v3
	v_cndmask_b32_e32 v3, 0, v54, vcc
	v_sub_u32_e32 v3, v3, v40
	v_lshl_add_u32 v18, v3, 6, v27
	v_ashrrev_i32_e32 v3, 31, v18
	v_lshrrev_b32_e32 v3, 26, v3
	v_add_u32_e32 v3, v18, v3
	v_ashrrev_i32_e32 v8, 6, v3
	s_or_b64 s[30:31], s[66:67], exec
.LBB6_583:                              ;   in Loop: Header=BB6_496 Depth=2
	s_or_b64 exec, exec, s[34:35]
	s_andn2_b64 s[28:29], s[66:67], exec
	s_and_b64 vcc, s[30:31], exec
	s_or_b64 s[66:67], s[28:29], vcc
	v_accvgpr_read_b32 v40, a14
	v_accvgpr_read_b32 v25, a3
.LBB6_584:                              ;   in Loop: Header=BB6_496 Depth=2
	s_or_b64 exec, exec, s[40:41]
	v_accvgpr_read_b32 v26, a18
	s_and_saveexec_b64 s[38:39], s[66:67]
	s_cbranch_execnz .LBB6_588
	s_branch .LBB6_599
.LBB6_585:                              ;   in Loop: Header=BB6_496 Depth=2
	s_cbranch_execnz .LBB6_600
	s_branch .LBB6_631
.LBB6_586:                              ;   in Loop: Header=BB6_496 Depth=2
	s_mov_b64 s[66:67], 0
                                        ; implicit-def: $sgpr30
                                        ; implicit-def: $vgpr5
                                        ; implicit-def: $sgpr88
	s_andn2_b64 vcc, exec, s[28:29]
	s_cbranch_vccz .LBB6_570
.LBB6_587:                              ;   in Loop: Header=BB6_496 Depth=2
	v_mov_b32_e32 v16, s30
	v_mov_b32_e32 v17, v38
	;; [unrolled: 1-line block ×4, first 2 shown]
	s_and_saveexec_b64 s[38:39], s[66:67]
	s_cbranch_execz .LBB6_599
.LBB6_588:                              ;   in Loop: Header=BB6_496 Depth=2
	v_ashrrev_i32_e32 v3, 31, v17
	v_lshrrev_b32_e32 v3, 22, v3
	v_add_u32_e32 v3, v17, v3
	s_waitcnt vmcnt(0)
	v_ashrrev_i32_e32 v21, 10, v3
	v_sub_u32_e32 v19, v21, v8
	v_ashrrev_i32_e32 v3, 31, v18
	v_cmp_lt_i32_e32 vcc, 0, v19
	v_lshrrev_b32_e32 v20, 26, v3
	s_and_saveexec_b64 s[40:41], vcc
	s_cbranch_execz .LBB6_592
; %bb.589:                              ;   in Loop: Header=BB6_496 Depth=2
	v_cvt_f32_u32_e32 v3, s88
	s_sub_i32 s28, 0, s88
	s_trap 2
	v_add_u32_e32 v9, v18, v20
	v_rcp_iflag_f32_e32 v3, v3
	ds_read_b128 v[10:13], v0
	v_and_b32_e32 v9, 0x3fffffc0, v9
	v_sub_u32_e32 v9, v18, v9
	v_mul_f32_e32 v3, 0x4f7ffffe, v3
	v_cvt_u32_f32_e32 v3, v3
	v_lshlrev_b32_e32 v9, 2, v9
	v_accvgpr_write_b32 a19, v38
	v_accvgpr_write_b32 a3, v25
	v_readfirstlane_b32 s29, v3
	s_mul_i32 s28, s28, s29
	s_mul_hi_u32 s28, s29, s28
	s_add_i32 s29, s29, s28
	s_mul_hi_u32 s28, s29, -1
	s_mul_i32 s29, s28, s88
	s_not_b32 s29, s29
	s_add_i32 vcc_lo, s28, 1
	s_sub_i32 vcc_hi, s29, s88
	s_cmp_ge_u32 s29, s88
	s_cselect_b32 s28, vcc_lo, s28
	s_cselect_b32 s29, vcc_hi, s29
	s_add_i32 vcc_lo, s28, 1
	v_lshlrev_b32_e32 v3, 10, v8
	s_cmp_ge_u32 s29, s88
	v_add3_u32 v3, v9, v16, v3
	s_cselect_b32 s44, vcc_lo, s28
	v_ashrrev_i32_e32 v14, 31, v3
	s_waitcnt lgkmcnt(0)
	v_add_co_u32_e32 v8, vcc, v10, v3
	v_addc_co_u32_e32 v9, vcc, v11, v14, vcc
	v_add_co_u32_e32 v10, vcc, v12, v3
	v_addc_co_u32_e32 v11, vcc, v13, v14, vcc
	s_mov_b64 s[42:43], 0
	v_pk_mov_b32 v[12:13], v[8:9], v[8:9] op_sel:[0,1]
	v_pk_mov_b32 v[14:15], v[10:11], v[10:11] op_sel:[0,1]
.LBB6_590:                              ;   Parent Loop BB6_47 Depth=1
                                        ;     Parent Loop BB6_496 Depth=2
                                        ; =>    This Inner Loop Header: Depth=3
	flat_load_dword v3, v[8:9] glc slc
	flat_load_dword v22, v[8:9] offset:256 glc slc
	flat_load_dword v23, v[8:9] offset:512 glc slc
	;; [unrolled: 1-line block ×3, first 2 shown]
	flat_load_dword v26, v[10:11] glc slc
	flat_load_dword v27, v[10:11] offset:256 glc slc
	flat_load_dword v38, v[10:11] offset:512 glc slc
	;; [unrolled: 1-line block ×3, first 2 shown]
	v_add_co_u32_e32 v8, vcc, v8, v1
	v_addc_co_u32_e32 v9, vcc, v9, v0, vcc
	v_add_co_u32_e32 v10, vcc, v10, v1
	v_addc_co_u32_e32 v11, vcc, v11, v0, vcc
	v_sub_u32_e32 v19, v19, v54
	v_cmp_gt_i32_e32 vcc, 1, v19
	s_or_b64 s[42:43], vcc, s[42:43]
	s_waitcnt vmcnt(0) lgkmcnt(0)
	v_add_u32_e32 v3, v26, v3
	v_and_b32_e32 v26, v3, v5
	v_add_u32_e32 v22, v27, v22
	v_sub_u32_e32 v27, 0, v3
	v_cmp_lt_i32_e32 vcc, -1, v26
	v_add_u32_e32 v23, v38, v23
	v_and_b32_e32 v38, v22, v5
	v_cndmask_b32_e32 v3, v27, v3, vcc
	v_add_u32_e32 v25, v39, v25
	v_sub_u32_e32 v39, 0, v22
	v_and_b32_e32 v53, v23, v5
	v_cmp_lt_i32_e64 s[28:29], -1, v38
	v_mul_hi_u32 v26, v3, s44
	v_cndmask_b32_e64 v22, v39, v22, s[28:29]
	v_cmp_lt_i32_e64 s[30:31], -1, v53
	v_mul_lo_u32 v53, s88, v26
	v_sub_u32_e32 v40, 0, v23
	v_mul_hi_u32 v27, v22, s44
	v_sub_u32_e32 v3, v3, v53
	v_and_b32_e32 v41, v25, v5
	v_cndmask_b32_e64 v23, v40, v23, s[30:31]
	v_mul_lo_u32 v40, s88, v27
	v_cmp_le_u32_e64 s[36:37], s88, v3
	v_sub_u32_e32 v44, 0, v25
	v_cmp_lt_i32_e64 s[34:35], -1, v41
	v_mul_hi_u32 v38, v23, s44
	v_sub_u32_e32 v22, v22, v40
	v_addc_co_u32_e64 v3, s[36:37], 0, v26, s[36:37]
	v_cndmask_b32_e64 v25, v44, v25, s[34:35]
	v_mul_lo_u32 v41, s88, v38
	v_cmp_le_u32_e64 s[36:37], s88, v22
	v_mul_hi_u32 v39, v25, s44
	v_sub_u32_e32 v23, v23, v41
	v_addc_co_u32_e64 v22, s[36:37], 0, v27, s[36:37]
	v_mul_lo_u32 v44, s88, v39
	v_cmp_le_u32_e64 s[36:37], s88, v23
	v_sub_u32_e32 v25, v25, v44
	v_addc_co_u32_e64 v23, s[36:37], 0, v38, s[36:37]
	v_cmp_le_u32_e64 s[36:37], s88, v25
	v_addc_co_u32_e64 v25, s[36:37], 0, v39, s[36:37]
	v_sub_u32_e32 v26, 0, v3
	v_sub_u32_e32 v27, 0, v22
	;; [unrolled: 1-line block ×4, first 2 shown]
	v_cndmask_b32_e32 v3, v26, v3, vcc
	v_cndmask_b32_e64 v22, v27, v22, s[28:29]
	v_cndmask_b32_e64 v23, v38, v23, s[30:31]
	;; [unrolled: 1-line block ×3, first 2 shown]
	flat_store_dword v[12:13], v3 glc slc
	flat_store_dword v[12:13], v22 offset:256 glc slc
	flat_store_dword v[12:13], v23 offset:512 glc slc
	;; [unrolled: 1-line block ×3, first 2 shown]
	flat_store_dword v[14:15], v3 glc slc
	flat_store_dword v[14:15], v22 offset:256 glc slc
	flat_store_dword v[14:15], v23 offset:512 glc slc
	;; [unrolled: 1-line block ×3, first 2 shown]
	v_add_co_u32_e32 v12, vcc, v12, v1
	v_addc_co_u32_e32 v13, vcc, v13, v0, vcc
	v_add_co_u32_e32 v14, vcc, v14, v1
	v_addc_co_u32_e32 v15, vcc, v15, v0, vcc
	s_andn2_b64 exec, exec, s[42:43]
	s_cbranch_execnz .LBB6_590
; %bb.591:                              ;   in Loop: Header=BB6_496 Depth=2
	s_or_b64 exec, exec, s[42:43]
	v_accvgpr_read_b32 v45, a15
	v_accvgpr_read_b32 v40, a14
	;; [unrolled: 1-line block ×7, first 2 shown]
.LBB6_592:                              ;   in Loop: Header=BB6_496 Depth=2
	s_or_b64 exec, exec, s[40:41]
	v_lshlrev_b32_e32 v8, 10, v21
	v_cmp_ne_u32_e32 vcc, v17, v8
	s_and_saveexec_b64 s[36:37], vcc
	s_cbranch_execz .LBB6_598
; %bb.593:                              ;   in Loop: Header=BB6_496 Depth=2
	v_add_u32_e32 v3, v18, v20
	v_and_b32_e32 v3, 0xffffffc0, v3
	v_sub_u32_e32 v3, v18, v3
	v_lshlrev_b32_e32 v9, 6, v19
	v_sub_u32_e32 v3, v3, v9
	v_ashrrev_i32_e32 v9, 31, v3
	v_lshrrev_b32_e32 v9, 26, v9
	v_add_u32_e32 v9, v3, v9
	v_and_b32_e32 v10, 0x3fffffc0, v9
	v_sub_u32_e32 v3, v3, v10
	v_lshlrev_b32_e32 v9, 2, v9
	v_and_b32_e32 v9, 0xffffff00, v9
	v_lshlrev_b32_e32 v3, 2, v3
	v_add3_u32 v8, v9, v3, v8
	v_sub_u32_e32 v17, v17, v8
	v_cmp_lt_i32_e32 vcc, 3, v17
	s_and_b64 exec, exec, vcc
	s_cbranch_execz .LBB6_598
; %bb.594:                              ;   in Loop: Header=BB6_496 Depth=2
	v_cvt_f32_u32_e32 v3, s88
	s_sub_i32 s28, 0, s88
	v_add_u32_e32 v12, v8, v16
	s_trap 2
	v_rcp_iflag_f32_e32 v3, v3
	ds_read_b128 v[8:11], v0
	v_ashrrev_i32_e32 v13, 31, v12
	s_mov_b64 s[40:41], 0
	v_mul_f32_e32 v3, 0x4f7ffffe, v3
	v_cvt_u32_f32_e32 v3, v3
	v_readfirstlane_b32 s29, v3
	s_mul_i32 s28, s28, s29
	s_mul_hi_u32 s28, s29, s28
	s_add_i32 s29, s29, s28
	s_mul_hi_u32 s28, s29, -1
	s_mul_i32 s29, s28, s88
	s_not_b32 s29, s29
	s_add_i32 vcc_lo, s28, 1
	s_sub_i32 vcc_hi, s29, s88
	s_cmp_ge_u32 s29, s88
	s_cselect_b32 s28, vcc_lo, s28
	s_cselect_b32 s29, vcc_hi, s29
	s_add_i32 vcc_lo, s28, 1
	s_cmp_ge_u32 s29, s88
	s_cselect_b32 s66, vcc_lo, s28
	s_waitcnt lgkmcnt(0)
	v_add_co_u32_e32 v8, vcc, v8, v12
	v_addc_co_u32_e32 v9, vcc, v9, v13, vcc
	v_add_co_u32_e32 v10, vcc, v10, v12
	v_addc_co_u32_e32 v11, vcc, v11, v13, vcc
	v_pk_mov_b32 v[12:13], v[8:9], v[8:9] op_sel:[0,1]
	v_pk_mov_b32 v[14:15], v[10:11], v[10:11] op_sel:[0,1]
.LBB6_595:                              ;   Parent Loop BB6_47 Depth=1
                                        ;     Parent Loop BB6_496 Depth=2
                                        ; =>    This Loop Header: Depth=3
                                        ;         Child Loop BB6_596 Depth 4
	flat_load_dword v3, v[12:13] glc slc
	flat_load_dword v16, v[14:15] glc slc
	s_mov_b64 s[44:45], -1
	s_mov_b64 s[42:43], 0
	s_waitcnt vmcnt(0) lgkmcnt(0)
	v_add_u32_e32 v3, v16, v3
	v_and_b32_e32 v16, v3, v5
	v_sub_u32_e32 v18, 0, v3
	v_cmp_lt_i32_e32 vcc, -1, v16
	v_cndmask_b32_e32 v3, v18, v3, vcc
	v_mul_hi_u32 v16, v3, s66
	v_mul_lo_u32 v18, s88, v16
	v_sub_u32_e32 v3, v3, v18
	v_cmp_le_u32_e64 s[28:29], s88, v3
	v_addc_co_u32_e64 v3, s[28:29], 0, v16, s[28:29]
	v_sub_u32_e32 v16, 0, v3
	v_cndmask_b32_e32 v16, v16, v3, vcc
.LBB6_596:                              ;   Parent Loop BB6_47 Depth=1
                                        ;     Parent Loop BB6_496 Depth=2
                                        ;       Parent Loop BB6_595 Depth=3
                                        ; =>      This Inner Loop Header: Depth=4
	s_cmp_eq_u32 s42, 0
	s_cselect_b64 s[28:29], -1, 0
	s_cmp_eq_u32 s42, 1
	s_cselect_b64 s[34:35], -1, 0
	v_cndmask_b32_e64 v3, 0, 1, s[44:45]
	v_cndmask_b32_e64 v18, v8, v10, s[34:35]
	v_cmp_ne_u32_e64 s[30:31], 1, v3
	v_cndmask_b32_e64 v19, v9, v11, s[34:35]
	v_add_co_u32_e32 v3, vcc, 0x100, v18
	flat_store_dword v[18:19], v16 glc slc
	v_addc_co_u32_e32 v18, vcc, 0, v19, vcc
	s_mov_b64 s[44:45], 0
	s_mov_b64 s[42:43], 1
	v_cndmask_b32_e64 v10, v10, v3, s[34:35]
	s_and_b64 vcc, exec, s[30:31]
	v_cndmask_b32_e64 v11, v11, v18, s[34:35]
	v_cndmask_b32_e64 v9, v9, v18, s[28:29]
	;; [unrolled: 1-line block ×3, first 2 shown]
	s_cbranch_vccz .LBB6_596
; %bb.597:                              ;   in Loop: Header=BB6_595 Depth=3
	v_add_co_u32_e32 v12, vcc, v12, v43
	v_addc_co_u32_e32 v13, vcc, v13, v61, vcc
	v_add_co_u32_e32 v14, vcc, v14, v43
	v_addc_co_u32_e32 v15, vcc, v15, v61, vcc
	;; [unrolled: 2-line block ×3, first 2 shown]
	v_sub_u32_e32 v17, v17, v60
	v_cmp_gt_i32_e32 vcc, 4, v17
	s_or_b64 s[40:41], vcc, s[40:41]
	v_add_co_u32_e32 v10, vcc, v10, v26
	v_addc_co_u32_e32 v11, vcc, v11, v39, vcc
	s_andn2_b64 exec, exec, s[40:41]
	s_cbranch_execnz .LBB6_595
.LBB6_598:                              ;   in Loop: Header=BB6_496 Depth=2
	s_or_b64 exec, exec, s[36:37]
	buffer_load_dword v20, off, s[0:3], s33 offset:92 ; 4-byte Folded Reload
	buffer_load_dword v21, off, s[0:3], s33 offset:96 ; 4-byte Folded Reload
.LBB6_599:                              ;   in Loop: Header=BB6_496 Depth=2
	s_or_b64 exec, exec, s[38:39]
	v_accvgpr_read_b32 v19, a17
	v_accvgpr_read_b32 v18, a16
	s_branch .LBB6_631
.LBB6_600:                              ;   in Loop: Header=BB6_496 Depth=2
	s_mov_b64 s[30:31], -1
	s_and_saveexec_b64 s[28:29], s[24:25]
	s_cbranch_execz .LBB6_602
; %bb.601:                              ;   in Loop: Header=BB6_496 Depth=2
	ds_read_b32 v5, v0 offset:720
	s_waitcnt lgkmcnt(0)
	v_and_b32_e32 v5, 15, v5
	v_cmp_eq_u32_e32 vcc, 0, v5
	s_orn2_b64 s[30:31], vcc, exec
.LBB6_602:                              ;   in Loop: Header=BB6_496 Depth=2
	s_or_b64 exec, exec, s[28:29]
	s_and_saveexec_b64 s[28:29], s[18:19]
	s_cbranch_execz .LBB6_604
; %bb.603:                              ;   in Loop: Header=BB6_496 Depth=2
	ds_read_b32 v5, v0 offset:784
	s_waitcnt lgkmcnt(0)
	v_and_b32_e32 v5, 15, v5
	v_cmp_eq_u32_e32 vcc, 0, v5
	s_and_b64 vcc, s[30:31], vcc
	s_andn2_b64 s[30:31], s[30:31], exec
	s_and_b64 vcc, vcc, exec
	s_or_b64 s[30:31], s[30:31], vcc
.LBB6_604:                              ;   in Loop: Header=BB6_496 Depth=2
	s_or_b64 exec, exec, s[28:29]
	s_xor_b64 vcc, s[30:31], -1
	v_cndmask_b32_e64 v5, 0, 1, vcc
	s_mov_b64 s[28:29], -1
	;;#ASMSTART
	;;#ASMEND
	v_cmp_ne_u32_e32 vcc, 0, v5
	v_alignbit_b32 v56, v4, v4, 1
	s_cbranch_vccz .LBB6_619
; %bb.605:                              ;   in Loop: Header=BB6_496 Depth=2
	v_alignbit_b32 v12, v4, v4, 1
	v_readfirstlane_b32 s28, v12
	s_and_b32 s88, s28, 0x7fffffff
	s_mov_b64 s[66:67], -1
	s_mov_b32 s30, 0
	s_cbranch_execnz .LBB6_620
.LBB6_606:                              ;   in Loop: Header=BB6_496 Depth=2
	v_ashrrev_i32_e32 v4, 31, v38
	v_lshrrev_b32_e32 v4, 21, v4
	v_add_u32_e32 v4, v38, v4
	v_ashrrev_i32_e32 v57, 11, v4
	v_readfirstlane_b32 s28, v56
	v_sub_u32_e32 v53, v57, v59
	s_and_b32 s88, s28, 0x7fffffff
	v_cmp_lt_i32_e32 vcc, 0, v53
	s_and_saveexec_b64 s[68:69], vcc
	s_cbranch_execz .LBB6_610
; %bb.607:                              ;   in Loop: Header=BB6_496 Depth=2
	v_cvt_f32_u32_e32 v4, s88
	s_sub_i32 s28, 0, s88
	s_trap 2
	ds_read_b128 v[8:11], v0
	ds_read_b64 v[12:13], v0
	v_rcp_iflag_f32_e32 v4, v4
	v_accvgpr_read_b32 v15, a27
	v_accvgpr_write_b32 a19, v38
	v_accvgpr_write_b32 a3, v25
	v_mul_f32_e32 v4, 0x4f7ffffe, v4
	v_cvt_u32_f32_e32 v4, v4
	v_mov_b32_e32 v25, v59
	v_mov_b32_e32 v3, v58
	s_mov_b64 s[70:71], 0
	v_readfirstlane_b32 s29, v4
	s_mul_i32 s28, s28, s29
	s_mul_hi_u32 s28, s29, s28
	s_add_i32 s29, s29, s28
	s_mul_hi_u32 s28, s29, -1
	s_mul_i32 s29, s28, s88
	s_not_b32 s29, s29
	s_add_i32 vcc_lo, s28, 1
	s_sub_i32 vcc_hi, s29, s88
	s_cmp_ge_u32 s29, s88
	s_cselect_b32 s28, vcc_lo, s28
	s_cselect_b32 s29, vcc_hi, s29
	s_add_i32 vcc_lo, s28, 1
	s_cmp_ge_u32 s29, s88
	s_cselect_b32 s89, vcc_lo, s28
	s_waitcnt lgkmcnt(0)
	v_add_co_u32_e32 v4, vcc, v8, v6
	v_addc_co_u32_e32 v5, vcc, v9, v15, vcc
	v_add_co_u32_e32 v26, vcc, v10, v6
	v_addc_co_u32_e32 v27, vcc, v11, v15, vcc
	;; [unrolled: 2-line block ×3, first 2 shown]
.LBB6_608:                              ;   Parent Loop BB6_47 Depth=1
                                        ;     Parent Loop BB6_496 Depth=2
                                        ; =>    This Inner Loop Header: Depth=3
	global_load_dwordx4 v[16:19], v[26:27], off glc slc
	global_load_dwordx4 v[20:23], v[4:5], off glc slc
	global_load_dwordx4 v[8:11], v[4:5], off offset:1024 glc slc
	global_load_dwordx4 v[12:15], v[26:27], off offset:1024 glc slc
	v_add_co_u32_e32 v4, vcc, v4, v42
	v_addc_co_u32_e32 v5, vcc, v5, v31, vcc
	v_add_co_u32_e32 v26, vcc, v26, v42
	v_addc_co_u32_e32 v27, vcc, v27, v31, vcc
	v_sub_u32_e32 v53, v53, v54
	v_cmp_gt_i32_e32 vcc, 1, v53
	s_or_b64 s[70:71], vcc, s[70:71]
	s_waitcnt vmcnt(0)
	v_add_u32_e32 v16, v16, v20
	v_add_co_u32_e32 v20, vcc, 0, v20
	v_addc_co_u32_e32 v17, vcc, v17, v21, vcc
	v_add_co_u32_e32 v20, vcc, 0, v22
	v_addc_co_u32_e32 v19, vcc, v19, v23, vcc
	v_add_u32_e32 v12, v12, v8
	v_add_co_u32_e32 v8, vcc, 0, v8
	v_addc_co_u32_e32 v8, vcc, v13, v9, vcc
	v_add_u32_e32 v9, v14, v10
	v_add_co_u32_e32 v10, vcc, 0, v10
	v_addc_co_u32_e32 v10, vcc, v15, v11, vcc
	v_and_b32_e32 v11, v56, v16
	v_sub_u32_e32 v13, 0, v16
	v_cmp_lt_i32_e32 vcc, -1, v11
	v_and_b32_e32 v14, v56, v17
	v_cndmask_b32_e32 v11, v13, v16, vcc
	v_add_u32_e32 v18, v18, v22
	v_sub_u32_e32 v15, 0, v17
	v_and_b32_e32 v38, v56, v12
	v_cmp_lt_i32_e64 s[28:29], -1, v14
	v_mul_hi_u32 v16, v11, s89
	v_and_b32_e32 v20, v56, v18
	v_cndmask_b32_e64 v13, v15, v17, s[28:29]
	v_cmp_lt_i32_e64 s[36:37], -1, v38
	v_mul_lo_u32 v38, s88, v16
	v_sub_u32_e32 v21, 0, v18
	v_sub_u32_e32 v39, 0, v12
	v_cmp_lt_i32_e64 s[30:31], -1, v20
	v_mul_hi_u32 v17, v13, s89
	v_sub_u32_e32 v11, v11, v38
	v_and_b32_e32 v22, v56, v19
	v_cndmask_b32_e64 v14, v21, v18, s[30:31]
	v_cndmask_b32_e64 v12, v39, v12, s[36:37]
	v_mul_lo_u32 v39, s88, v17
	v_cmp_le_u32_e64 s[44:45], s88, v11
	v_sub_u32_e32 v23, 0, v19
	v_and_b32_e32 v44, v56, v8
	v_cmp_lt_i32_e64 s[34:35], -1, v22
	v_mul_hi_u32 v18, v14, s89
	v_sub_u32_e32 v13, v13, v39
	v_addc_co_u32_e64 v11, s[44:45], 0, v16, s[44:45]
	v_cndmask_b32_e64 v15, v23, v19, s[34:35]
	v_cmp_lt_i32_e64 s[38:39], -1, v44
	v_mul_lo_u32 v44, s88, v18
	v_cmp_le_u32_e64 s[44:45], s88, v13
	v_sub_u32_e32 v45, 0, v8
	v_mul_hi_u32 v19, v15, s89
	v_sub_u32_e32 v14, v14, v44
	v_addc_co_u32_e64 v13, s[44:45], 0, v17, s[44:45]
	v_cndmask_b32_e64 v8, v45, v8, s[38:39]
	v_mul_lo_u32 v45, s88, v19
	v_cmp_le_u32_e64 s[44:45], s88, v14
	v_and_b32_e32 v46, v56, v9
	v_mul_hi_u32 v20, v12, s89
	v_sub_u32_e32 v15, v15, v45
	v_addc_co_u32_e64 v14, s[44:45], 0, v18, s[44:45]
	v_cmp_lt_i32_e64 s[40:41], -1, v46
	v_mul_lo_u32 v46, s88, v20
	v_cmp_le_u32_e64 s[44:45], s88, v15
	v_sub_u32_e32 v47, 0, v9
	v_mul_hi_u32 v21, v8, s89
	v_sub_u32_e32 v12, v12, v46
	v_addc_co_u32_e64 v15, s[44:45], 0, v19, s[44:45]
	v_and_b32_e32 v58, v56, v10
	v_cndmask_b32_e64 v9, v47, v9, s[40:41]
	v_mul_lo_u32 v47, s88, v21
	v_cmp_le_u32_e64 s[44:45], s88, v12
	v_sub_u32_e32 v59, 0, v10
	v_cmp_lt_i32_e64 s[42:43], -1, v58
	v_mul_hi_u32 v22, v9, s89
	v_sub_u32_e32 v8, v8, v47
	v_addc_co_u32_e64 v12, s[44:45], 0, v20, s[44:45]
	v_cndmask_b32_e64 v10, v59, v10, s[42:43]
	v_mul_lo_u32 v58, s88, v22
	v_cmp_le_u32_e64 s[44:45], s88, v8
	v_mul_hi_u32 v23, v10, s89
	v_sub_u32_e32 v9, v9, v58
	v_addc_co_u32_e64 v16, s[44:45], 0, v21, s[44:45]
	v_mul_lo_u32 v59, s88, v23
	v_cmp_le_u32_e64 s[44:45], s88, v9
	v_sub_u32_e32 v10, v10, v59
	v_addc_co_u32_e64 v17, s[44:45], 0, v22, s[44:45]
	v_cmp_le_u32_e64 s[44:45], s88, v10
	v_addc_co_u32_e64 v18, s[44:45], 0, v23, s[44:45]
	v_sub_u32_e32 v8, 0, v11
	v_sub_u32_e32 v9, 0, v13
	;; [unrolled: 1-line block ×8, first 2 shown]
	v_cndmask_b32_e32 v8, v8, v11, vcc
	v_cndmask_b32_e64 v9, v9, v13, s[28:29]
	v_cndmask_b32_e64 v10, v10, v14, s[30:31]
	;; [unrolled: 1-line block ×7, first 2 shown]
	global_store_dwordx4 v[40:41], v[8:11], off glc slc
	global_store_dwordx4 v[40:41], v[12:15], off offset:1024 glc slc
	v_add_co_u32_e32 v40, vcc, v40, v42
	v_addc_co_u32_e32 v41, vcc, v41, v31, vcc
	s_andn2_b64 exec, exec, s[70:71]
	s_cbranch_execnz .LBB6_608
; %bb.609:                              ;   in Loop: Header=BB6_496 Depth=2
	s_or_b64 exec, exec, s[70:71]
	v_accvgpr_read_b32 v47, a13
	v_accvgpr_read_b32 v19, a17
	v_mov_b32_e32 v58, v3
	v_accvgpr_read_b32 v46, a12
	v_accvgpr_read_b32 v45, a15
	;; [unrolled: 1-line block ×5, first 2 shown]
	v_mov_b32_e32 v59, v25
	v_accvgpr_read_b32 v39, a23
	v_accvgpr_read_b32 v44, a22
	;; [unrolled: 1-line block ×4, first 2 shown]
.LBB6_610:                              ;   in Loop: Header=BB6_496 Depth=2
	s_or_b64 exec, exec, s[68:69]
	s_waitcnt vmcnt(0)
	v_lshlrev_b32_e32 v20, 11, v57
	v_cmp_ne_u32_e32 vcc, v38, v20
                                        ; implicit-def: $vgpr13
                                        ; implicit-def: $vgpr14
                                        ; implicit-def: $vgpr12
                                        ; implicit-def: $vgpr4
	s_mov_b64 s[40:41], exec
	s_and_b64 s[28:29], s[40:41], vcc
	v_mov_b32_e32 v57, 1
	s_mov_b64 exec, s[28:29]
	s_cbranch_execz .LBB6_618
; %bb.611:                              ;   in Loop: Header=BB6_496 Depth=2
	v_lshlrev_b32_e32 v4, 6, v53
	v_accvgpr_read_b32 v3, a20
	v_sub_u32_e32 v4, v3, v4
	v_ashrrev_i32_e32 v8, 31, v4
	v_lshrrev_b32_e32 v8, 26, v8
	v_add_u32_e32 v8, v4, v8
	v_sub_u32_e32 v5, v38, v20
	v_ashrrev_i32_e32 v9, 6, v8
	v_and_b32_e32 v8, 0xffffffc0, v8
	v_sub_u32_e32 v21, v4, v8
	v_ashrrev_i32_e32 v8, 31, v5
	v_lshrrev_b32_e32 v8, 22, v8
	v_add_u32_e32 v8, v5, v8
	v_and_b32_e32 v22, 0xfffffc00, v8
	v_lshlrev_b32_e32 v4, 4, v21
	v_sub_u32_e32 v26, v5, v22
	v_lshl_add_u32 v4, v9, 10, v4
	v_ashrrev_i32_e32 v10, 10, v8
	v_cmp_lt_i32_e32 vcc, 15, v26
	v_sub_u32_e32 v27, v5, v4
	v_addc_co_u32_e64 v5, s[28:29], 0, v10, vcc
	v_sub_u32_e32 v23, v5, v9
	v_cmp_lt_i32_e64 s[28:29], 15, v27
	s_and_saveexec_b64 s[42:43], s[28:29]
	s_cbranch_execz .LBB6_615
; %bb.612:                              ;   in Loop: Header=BB6_496 Depth=2
	v_cvt_f32_u32_e32 v5, s88
	v_add_u32_e32 v14, v4, v20
	s_sub_i32 s28, 0, s88
	s_trap 2
	v_rcp_iflag_f32_e32 v5, v5
	ds_read_b128 v[8:11], v0
	ds_read_b64 v[12:13], v0
	v_ashrrev_i32_e32 v15, 31, v14
	v_mov_b32_e32 v3, v38
	v_mul_f32_e32 v4, 0x4f7ffffe, v5
	v_cvt_u32_f32_e32 v4, v4
	s_mov_b64 s[44:45], 0
	v_readfirstlane_b32 s29, v4
	s_mul_i32 s28, s28, s29
	s_mul_hi_u32 s28, s29, s28
	s_add_i32 s29, s29, s28
	s_mul_hi_u32 s28, s29, -1
	s_mul_i32 s29, s28, s88
	s_not_b32 s29, s29
	s_add_i32 s30, s28, 1
	s_sub_i32 s31, s29, s88
	s_cmp_ge_u32 s29, s88
	s_cselect_b32 s28, s30, s28
	s_cselect_b32 s29, s31, s29
	s_add_i32 s30, s28, 1
	s_cmp_ge_u32 s29, s88
	s_cselect_b32 s68, s30, s28
	s_waitcnt lgkmcnt(0)
	v_add_co_u32_e64 v4, s[28:29], v8, v14
	v_addc_co_u32_e64 v5, s[28:29], v9, v15, s[28:29]
	v_add_co_u32_e64 v16, s[28:29], v10, v14
	v_addc_co_u32_e64 v17, s[28:29], v11, v15, s[28:29]
	;; [unrolled: 2-line block ×3, first 2 shown]
.LBB6_613:                              ;   Parent Loop BB6_47 Depth=1
                                        ;     Parent Loop BB6_496 Depth=2
                                        ; =>    This Inner Loop Header: Depth=3
	global_load_dwordx4 v[8:11], v[4:5], off glc slc
	global_load_dwordx4 v[12:15], v[16:17], off glc slc
	v_add_co_u32_e64 v4, s[28:29], v4, v1
	v_addc_co_u32_e64 v5, s[28:29], v5, v0, s[28:29]
	v_add_co_u32_e64 v16, s[28:29], v16, v1
	v_addc_co_u32_e64 v17, s[28:29], v17, v0, s[28:29]
	v_sub_u32_e32 v27, v27, v55
	v_cmp_gt_i32_e64 s[28:29], 16, v27
	s_or_b64 s[44:45], s[28:29], s[44:45]
	v_sub_u32_e32 v23, v23, v54
	s_waitcnt vmcnt(0)
	v_add_u32_e32 v12, v12, v8
	v_add_co_u32_e64 v8, s[28:29], 0, v8
	v_addc_co_u32_e64 v8, s[28:29], v13, v9, s[28:29]
	v_add_u32_e32 v9, v14, v10
	v_add_co_u32_e64 v10, s[28:29], 0, v10
	v_addc_co_u32_e64 v10, s[28:29], v15, v11, s[28:29]
	v_and_b32_e32 v11, v56, v12
	v_sub_u32_e32 v13, 0, v12
	v_cmp_lt_i32_e64 s[28:29], -1, v11
	v_and_b32_e32 v14, v56, v8
	v_cndmask_b32_e64 v11, v13, v12, s[28:29]
	v_sub_u32_e32 v15, 0, v8
	v_and_b32_e32 v38, v56, v9
	v_cmp_lt_i32_e64 s[30:31], -1, v14
	v_mul_hi_u32 v12, v11, s68
	v_cndmask_b32_e64 v8, v15, v8, s[30:31]
	v_cmp_lt_i32_e64 s[34:35], -1, v38
	v_mul_lo_u32 v38, s88, v12
	v_sub_u32_e32 v39, 0, v9
	v_mul_hi_u32 v13, v8, s68
	v_sub_u32_e32 v11, v11, v38
	v_and_b32_e32 v53, v56, v10
	v_cndmask_b32_e64 v9, v39, v9, s[34:35]
	v_mul_lo_u32 v39, s88, v13
	v_cmp_le_u32_e64 s[38:39], s88, v11
	v_sub_u32_e32 v40, 0, v10
	v_cmp_lt_i32_e64 s[36:37], -1, v53
	v_mul_hi_u32 v14, v9, s68
	v_sub_u32_e32 v8, v8, v39
	v_addc_co_u32_e64 v11, s[38:39], 0, v12, s[38:39]
	v_cndmask_b32_e64 v10, v40, v10, s[36:37]
	v_mul_lo_u32 v53, s88, v14
	v_cmp_le_u32_e64 s[38:39], s88, v8
	v_mul_hi_u32 v15, v10, s68
	v_sub_u32_e32 v9, v9, v53
	v_addc_co_u32_e64 v12, s[38:39], 0, v13, s[38:39]
	v_mul_lo_u32 v40, s88, v15
	v_cmp_le_u32_e64 s[38:39], s88, v9
	v_sub_u32_e32 v10, v10, v40
	v_addc_co_u32_e64 v13, s[38:39], 0, v14, s[38:39]
	v_cmp_le_u32_e64 s[38:39], s88, v10
	v_addc_co_u32_e64 v14, s[38:39], 0, v15, s[38:39]
	v_sub_u32_e32 v8, 0, v11
	v_sub_u32_e32 v9, 0, v12
	;; [unrolled: 1-line block ×4, first 2 shown]
	v_cndmask_b32_e64 v8, v8, v11, s[28:29]
	v_cndmask_b32_e64 v9, v9, v12, s[30:31]
	;; [unrolled: 1-line block ×4, first 2 shown]
	global_store_dwordx4 v[18:19], v[8:11], off glc slc
	v_add_co_u32_e64 v18, s[28:29], v18, v1
	v_addc_co_u32_e64 v19, s[28:29], v19, v0, s[28:29]
	s_andn2_b64 exec, exec, s[44:45]
	s_cbranch_execnz .LBB6_613
; %bb.614:                              ;   in Loop: Header=BB6_496 Depth=2
	s_or_b64 exec, exec, s[44:45]
	v_accvgpr_read_b32 v19, a17
	v_accvgpr_read_b32 v18, a16
	;; [unrolled: 1-line block ×4, first 2 shown]
	v_mov_b32_e32 v38, v3
.LBB6_615:                              ;   in Loop: Header=BB6_496 Depth=2
	s_or_b64 exec, exec, s[42:43]
	v_and_b32_e32 v5, 12, v38
	v_cndmask_b32_e32 v38, v26, v5, vcc
	v_cmp_ne_u32_e64 s[28:29], 0, v38
	s_mov_b64 s[30:31], s[66:67]
                                        ; implicit-def: $vgpr13
                                        ; implicit-def: $vgpr14
                                        ; implicit-def: $vgpr4
	s_and_saveexec_b64 s[34:35], s[28:29]
	s_cbranch_execz .LBB6_617
; %bb.616:                              ;   in Loop: Header=BB6_496 Depth=2
	v_sub_u32_e32 v4, v26, v5
	v_cndmask_b32_e32 v4, 0, v4, vcc
	v_cmp_lt_i32_e32 vcc, 0, v23
	v_add3_u32 v13, v22, v20, v4
	v_cndmask_b32_e32 v4, 0, v54, vcc
	v_sub_u32_e32 v4, v4, v23
	v_lshl_add_u32 v14, v4, 6, v21
	v_ashrrev_i32_e32 v4, 31, v14
	v_lshrrev_b32_e32 v4, 26, v4
	v_add_u32_e32 v4, v14, v4
	v_ashrrev_i32_e32 v4, 6, v4
	s_or_b64 s[30:31], s[66:67], exec
.LBB6_617:                              ;   in Loop: Header=BB6_496 Depth=2
	s_or_b64 exec, exec, s[34:35]
	s_andn2_b64 s[28:29], s[66:67], exec
	s_and_b64 vcc, s[30:31], exec
	s_or_b64 s[66:67], s[28:29], vcc
	v_mov_b32_e32 v12, v56
	v_accvgpr_read_b32 v26, a18
.LBB6_618:                              ;   in Loop: Header=BB6_496 Depth=2
	s_or_b64 exec, exec, s[40:41]
	buffer_load_dword v20, off, s[0:3], s33 offset:92 ; 4-byte Folded Reload
	buffer_load_dword v21, off, s[0:3], s33 offset:96 ; 4-byte Folded Reload
	s_and_saveexec_b64 s[38:39], s[66:67]
	s_cbranch_execnz .LBB6_621
	s_branch .LBB6_630
.LBB6_619:                              ;   in Loop: Header=BB6_496 Depth=2
	s_mov_b64 s[66:67], 0
                                        ; implicit-def: $sgpr30
                                        ; implicit-def: $vgpr12
                                        ; implicit-def: $sgpr88
	s_andn2_b64 vcc, exec, s[28:29]
	s_cbranch_vccz .LBB6_606
.LBB6_620:                              ;   in Loop: Header=BB6_496 Depth=2
	v_mov_b32_e32 v13, s30
	v_mov_b32_e32 v14, v58
	v_mov_b32_e32 v4, v59
	s_and_saveexec_b64 s[38:39], s[66:67]
	s_cbranch_execz .LBB6_630
.LBB6_621:                              ;   in Loop: Header=BB6_496 Depth=2
	v_ashrrev_i32_e32 v5, 31, v38
	v_lshrrev_b32_e32 v5, 22, v5
	v_add_u32_e32 v5, v38, v5
	v_ashrrev_i32_e32 v16, 10, v5
	v_sub_u32_e32 v15, v16, v4
	v_cmp_lt_i32_e32 vcc, 0, v15
	s_and_saveexec_b64 s[40:41], vcc
	s_cbranch_execz .LBB6_625
; %bb.622:                              ;   in Loop: Header=BB6_496 Depth=2
	v_cvt_f32_u32_e32 v5, s88
	s_sub_i32 s28, 0, s88
	v_ashrrev_i32_e32 v8, 31, v14
	v_lshrrev_b32_e32 v8, 26, v8
	v_rcp_iflag_f32_e32 v5, v5
	v_add_u32_e32 v8, v14, v8
	v_and_b32_e32 v8, 0x3fffffc0, v8
	v_sub_u32_e32 v8, v14, v8
	v_mul_f32_e32 v5, 0x4f7ffffe, v5
	v_cvt_u32_f32_e32 v5, v5
	s_trap 2
	v_lshlrev_b32_e32 v4, 10, v4
	v_mov_b32_e32 v3, v38
	v_readfirstlane_b32 s29, v5
	s_mul_i32 s28, s28, s29
	s_mul_hi_u32 s28, s29, s28
	s_add_i32 s29, s29, s28
	s_mul_hi_u32 s28, s29, -1
	s_mul_i32 s29, s28, s88
	s_not_b32 s29, s29
	s_add_i32 vcc_lo, s28, 1
	s_sub_i32 vcc_hi, s29, s88
	v_lshlrev_b32_e32 v5, 2, v8
	ds_read_b128 v[8:11], v0
	ds_read_b64 v[18:19], v0
	s_cmp_ge_u32 s29, s88
	s_cselect_b32 s28, vcc_lo, s28
	s_cselect_b32 s29, vcc_hi, s29
	s_add_i32 vcc_lo, s28, 1
	s_cmp_ge_u32 s29, s88
	v_add3_u32 v17, v5, v13, v4
	s_cselect_b32 s44, vcc_lo, s28
	s_waitcnt vmcnt(0)
	v_ashrrev_i32_e32 v20, 31, v17
	s_waitcnt lgkmcnt(0)
	v_add_co_u32_e32 v4, vcc, v8, v17
	v_addc_co_u32_e32 v5, vcc, v9, v20, vcc
	v_add_co_u32_e32 v8, vcc, v10, v17
	v_addc_co_u32_e32 v9, vcc, v11, v20, vcc
	;; [unrolled: 2-line block ×3, first 2 shown]
	s_mov_b64 s[42:43], 0
.LBB6_623:                              ;   Parent Loop BB6_47 Depth=1
                                        ;     Parent Loop BB6_496 Depth=2
                                        ; =>    This Inner Loop Header: Depth=3
	flat_load_dword v17, v[4:5] glc slc
	flat_load_dword v18, v[4:5] offset:256 glc slc
	flat_load_dword v19, v[4:5] offset:512 glc slc
	;; [unrolled: 1-line block ×3, first 2 shown]
	flat_load_dword v21, v[8:9] glc slc
	flat_load_dword v22, v[8:9] offset:256 glc slc
	flat_load_dword v23, v[8:9] offset:512 glc slc
	flat_load_dword v26, v[8:9] offset:768 glc slc
	v_add_co_u32_e32 v4, vcc, v4, v1
	v_addc_co_u32_e32 v5, vcc, v5, v0, vcc
	v_add_co_u32_e32 v8, vcc, v8, v1
	v_addc_co_u32_e32 v9, vcc, v9, v0, vcc
	v_sub_u32_e32 v15, v15, v54
	v_cmp_gt_i32_e32 vcc, 1, v15
	s_or_b64 s[42:43], vcc, s[42:43]
	s_waitcnt vmcnt(0) lgkmcnt(0)
	v_add_u32_e32 v17, v21, v17
	v_and_b32_e32 v21, v17, v12
	v_add_u32_e32 v18, v22, v18
	v_sub_u32_e32 v22, 0, v17
	v_cmp_lt_i32_e32 vcc, -1, v21
	v_add_u32_e32 v19, v23, v19
	v_and_b32_e32 v23, v18, v12
	v_cndmask_b32_e32 v17, v22, v17, vcc
	v_add_u32_e32 v20, v26, v20
	v_sub_u32_e32 v26, 0, v18
	v_and_b32_e32 v27, v19, v12
	v_cmp_lt_i32_e64 s[28:29], -1, v23
	v_mul_hi_u32 v21, v17, s44
	v_cndmask_b32_e64 v18, v26, v18, s[28:29]
	v_cmp_lt_i32_e64 s[30:31], -1, v27
	v_mul_lo_u32 v27, s88, v21
	v_sub_u32_e32 v38, 0, v19
	v_mul_hi_u32 v22, v18, s44
	v_sub_u32_e32 v17, v17, v27
	v_and_b32_e32 v39, v20, v12
	v_cndmask_b32_e64 v19, v38, v19, s[30:31]
	v_mul_lo_u32 v38, s88, v22
	v_cmp_le_u32_e64 s[36:37], s88, v17
	v_sub_u32_e32 v53, 0, v20
	v_cmp_lt_i32_e64 s[34:35], -1, v39
	v_mul_hi_u32 v23, v19, s44
	v_sub_u32_e32 v18, v18, v38
	v_addc_co_u32_e64 v17, s[36:37], 0, v21, s[36:37]
	v_cndmask_b32_e64 v20, v53, v20, s[34:35]
	v_mul_lo_u32 v39, s88, v23
	v_cmp_le_u32_e64 s[36:37], s88, v18
	v_mul_hi_u32 v26, v20, s44
	v_sub_u32_e32 v19, v19, v39
	v_addc_co_u32_e64 v18, s[36:37], 0, v22, s[36:37]
	v_mul_lo_u32 v53, s88, v26
	v_cmp_le_u32_e64 s[36:37], s88, v19
	v_sub_u32_e32 v20, v20, v53
	v_addc_co_u32_e64 v19, s[36:37], 0, v23, s[36:37]
	v_cmp_le_u32_e64 s[36:37], s88, v20
	v_addc_co_u32_e64 v20, s[36:37], 0, v26, s[36:37]
	v_sub_u32_e32 v21, 0, v17
	v_sub_u32_e32 v22, 0, v18
	;; [unrolled: 1-line block ×4, first 2 shown]
	v_cndmask_b32_e32 v17, v21, v17, vcc
	v_cndmask_b32_e64 v18, v22, v18, s[28:29]
	v_cndmask_b32_e64 v19, v23, v19, s[30:31]
	;; [unrolled: 1-line block ×3, first 2 shown]
	flat_store_dword v[10:11], v17 glc slc
	flat_store_dword v[10:11], v18 offset:256 glc slc
	flat_store_dword v[10:11], v19 offset:512 glc slc
	;; [unrolled: 1-line block ×3, first 2 shown]
	v_add_co_u32_e32 v10, vcc, v10, v1
	v_addc_co_u32_e32 v11, vcc, v11, v0, vcc
	s_andn2_b64 exec, exec, s[42:43]
	s_cbranch_execnz .LBB6_623
; %bb.624:                              ;   in Loop: Header=BB6_496 Depth=2
	s_or_b64 exec, exec, s[42:43]
	buffer_load_dword v20, off, s[0:3], s33 offset:92 ; 4-byte Folded Reload
	buffer_load_dword v21, off, s[0:3], s33 offset:96 ; 4-byte Folded Reload
	v_accvgpr_read_b32 v19, a17
	v_accvgpr_read_b32 v18, a16
	;; [unrolled: 1-line block ×4, first 2 shown]
	v_mov_b32_e32 v38, v3
.LBB6_625:                              ;   in Loop: Header=BB6_496 Depth=2
	s_or_b64 exec, exec, s[40:41]
	v_lshlrev_b32_e32 v4, 10, v16
	v_cmp_ne_u32_e32 vcc, v38, v4
	s_and_saveexec_b64 s[30:31], vcc
	s_cbranch_execz .LBB6_629
; %bb.626:                              ;   in Loop: Header=BB6_496 Depth=2
	v_ashrrev_i32_e32 v5, 31, v14
	v_lshrrev_b32_e32 v5, 26, v5
	v_add_u32_e32 v5, v14, v5
	v_and_b32_e32 v5, 0xffffffc0, v5
	v_sub_u32_e32 v5, v14, v5
	v_lshlrev_b32_e32 v8, 6, v15
	v_sub_u32_e32 v5, v5, v8
	v_ashrrev_i32_e32 v8, 31, v5
	v_lshrrev_b32_e32 v8, 26, v8
	v_add_u32_e32 v8, v5, v8
	v_and_b32_e32 v9, 0x3fffffc0, v8
	v_sub_u32_e32 v5, v5, v9
	v_lshlrev_b32_e32 v8, 2, v8
	v_and_b32_e32 v8, 0xffffff00, v8
	v_lshlrev_b32_e32 v5, 2, v5
	v_add3_u32 v4, v8, v5, v4
	v_sub_u32_e32 v14, v38, v4
	v_cmp_lt_i32_e32 vcc, 3, v14
	s_and_b64 exec, exec, vcc
	s_cbranch_execz .LBB6_629
; %bb.627:                              ;   in Loop: Header=BB6_496 Depth=2
	v_cvt_f32_u32_e32 v5, s88
	v_add_u32_e32 v13, v4, v13
	s_sub_i32 s28, 0, s88
	s_trap 2
	v_rcp_iflag_f32_e32 v5, v5
	ds_read_b128 v[8:11], v0
	ds_read_b64 v[16:17], v0
	v_ashrrev_i32_e32 v15, 31, v13
	s_mov_b64 s[34:35], 0
	v_mul_f32_e32 v4, 0x4f7ffffe, v5
	v_cvt_u32_f32_e32 v4, v4
	v_readfirstlane_b32 s29, v4
	s_mul_i32 s28, s28, s29
	s_mul_hi_u32 s28, s29, s28
	s_add_i32 s29, s29, s28
	s_mul_hi_u32 s28, s29, -1
	s_mul_i32 s29, s28, s88
	s_not_b32 s29, s29
	s_add_i32 vcc_lo, s28, 1
	s_sub_i32 vcc_hi, s29, s88
	s_cmp_ge_u32 s29, s88
	s_cselect_b32 s28, vcc_lo, s28
	s_cselect_b32 s29, vcc_hi, s29
	s_add_i32 vcc_lo, s28, 1
	s_cmp_ge_u32 s29, s88
	s_cselect_b32 s36, vcc_lo, s28
	s_waitcnt lgkmcnt(0)
	v_add_co_u32_e32 v4, vcc, v8, v13
	v_addc_co_u32_e32 v5, vcc, v9, v15, vcc
	v_add_co_u32_e32 v8, vcc, v10, v13
	v_addc_co_u32_e32 v9, vcc, v11, v15, vcc
	;; [unrolled: 2-line block ×3, first 2 shown]
.LBB6_628:                              ;   Parent Loop BB6_47 Depth=1
                                        ;     Parent Loop BB6_496 Depth=2
                                        ; =>    This Inner Loop Header: Depth=3
	flat_load_dword v13, v[4:5] glc slc
	flat_load_dword v15, v[8:9] glc slc
	v_add_co_u32_e32 v4, vcc, v4, v43
	v_addc_co_u32_e32 v5, vcc, v5, v61, vcc
	v_add_co_u32_e32 v8, vcc, v8, v43
	v_addc_co_u32_e32 v9, vcc, v9, v61, vcc
	v_sub_u32_e32 v14, v14, v60
	v_cmp_gt_i32_e32 vcc, 4, v14
	s_or_b64 s[34:35], vcc, s[34:35]
	s_waitcnt vmcnt(0) lgkmcnt(0)
	v_add_u32_e32 v13, v15, v13
	v_and_b32_e32 v15, v13, v12
	v_sub_u32_e32 v16, 0, v13
	v_cmp_lt_i32_e32 vcc, -1, v15
	v_cndmask_b32_e32 v13, v16, v13, vcc
	v_mul_hi_u32 v15, v13, s36
	v_mul_lo_u32 v16, s88, v15
	v_sub_u32_e32 v13, v13, v16
	v_cmp_le_u32_e64 s[28:29], s88, v13
	v_addc_co_u32_e64 v13, s[28:29], 0, v15, s[28:29]
	v_sub_u32_e32 v15, 0, v13
	v_cndmask_b32_e32 v13, v15, v13, vcc
	flat_store_dword v[10:11], v13 glc slc
	v_add_co_u32_e32 v10, vcc, v10, v43
	v_addc_co_u32_e32 v11, vcc, v11, v61, vcc
	s_andn2_b64 exec, exec, s[34:35]
	s_cbranch_execnz .LBB6_628
.LBB6_629:                              ;   in Loop: Header=BB6_496 Depth=2
	s_or_b64 exec, exec, s[30:31]
.LBB6_630:                              ;   in Loop: Header=BB6_496 Depth=2
	s_or_b64 exec, exec, s[38:39]
.LBB6_631:                              ;   in Loop: Header=BB6_496 Depth=2
	s_and_saveexec_b64 s[28:29], s[10:11]
	s_cbranch_execz .LBB6_650
; %bb.632:                              ;   in Loop: Header=BB6_496 Depth=2
	s_and_saveexec_b64 vcc, s[52:53]
	s_xor_b64 s[30:31], exec, vcc
	s_cbranch_execz .LBB6_647
; %bb.633:                              ;   in Loop: Header=BB6_496 Depth=2
	s_and_saveexec_b64 s[34:35], s[16:17]
	s_cbranch_execz .LBB6_646
; %bb.634:                              ;   in Loop: Header=BB6_496 Depth=2
	s_mov_b64 s[38:39], exec
	v_mbcnt_lo_u32_b32 v3, s38, 0
	v_mbcnt_hi_u32_b32 v3, s39, v3
	v_cmp_eq_u32_e32 vcc, 0, v3
	s_waitcnt vmcnt(0) lgkmcnt(0)
	buffer_wbinvl1_vol
	s_and_saveexec_b64 s[36:37], vcc
	s_cbranch_execz .LBB6_636
; %bb.635:                              ;   in Loop: Header=BB6_496 Depth=2
	s_bcnt1_i32_b64 vcc_lo, s[38:39]
	v_mov_b32_e32 v4, vcc_lo
	v_mov_b32_e32 v5, v52
	ds_add_u64 v0, v[4:5]
	s_trap 2
.LBB6_636:                              ;   in Loop: Header=BB6_496 Depth=2
	s_or_b64 exec, exec, s[36:37]
	s_trap 2
	ds_read_b64 v[4:5], v0
	v_add_co_u32_e32 v48, vcc, v48, v54
	v_addc_co_u32_e32 v49, vcc, 0, v49, vcc
	s_waitcnt lgkmcnt(0)
	v_cmp_lt_u64_e32 vcc, v[4:5], v[48:49]
	s_and_saveexec_b64 s[36:37], vcc
	s_cbranch_execz .LBB6_645
; %bb.637:                              ;   in Loop: Header=BB6_496 Depth=2
	s_mov_b32 s68, 0
	s_mov_b64 s[38:39], 0
                                        ; implicit-def: $sgpr40_sgpr41
                                        ; implicit-def: $sgpr42_sgpr43
	s_branch .LBB6_639
.LBB6_638:                              ;   in Loop: Header=BB6_639 Depth=3
	s_or_b64 exec, exec, s[66:67]
	s_and_b64 vcc, exec, vcc
	s_or_b64 s[38:39], vcc, s[38:39]
	s_andn2_b64 vcc, s[40:41], exec
	s_and_b64 s[40:41], s[42:43], exec
	s_or_b64 s[40:41], vcc, s[40:41]
	s_andn2_b64 exec, exec, s[38:39]
	s_cbranch_execz .LBB6_643
.LBB6_639:                              ;   Parent Loop BB6_47 Depth=1
                                        ;     Parent Loop BB6_496 Depth=2
                                        ; =>    This Inner Loop Header: Depth=3
	s_add_i32 s68, s68, 1
	s_cmpk_lg_i32 s68, 0x2710
	s_cselect_b64 s[44:45], -1, 0
	s_and_b64 vcc, exec, s[44:45]
                                        ; implicit-def: $sgpr66_sgpr67
	s_cbranch_vccnz .LBB6_641
; %bb.640:                              ;   in Loop: Header=BB6_639 Depth=3
	s_trap 2
	ds_read_b64 v[4:5], v0
	s_andn2_b64 s[44:45], s[44:45], exec
	s_mov_b32 s68, 0
	s_mov_b64 s[66:67], -1
	s_waitcnt lgkmcnt(0)
	flat_load_dword v3, v[4:5] glc
	s_waitcnt vmcnt(0) lgkmcnt(0)
	buffer_invl2
	buffer_wbinvl1_vol
	v_cmp_eq_u32_e32 vcc, 0, v3
	s_and_b64 vcc, vcc, exec
	s_or_b64 s[44:45], s[44:45], vcc
.LBB6_641:                              ;   in Loop: Header=BB6_639 Depth=3
	s_andn2_b64 s[42:43], s[42:43], exec
	s_and_b64 s[66:67], s[66:67], exec
	s_mov_b64 vcc, -1
	s_or_b64 s[42:43], s[42:43], s[66:67]
	s_and_saveexec_b64 s[66:67], s[44:45]
	s_cbranch_execz .LBB6_638
; %bb.642:                              ;   in Loop: Header=BB6_639 Depth=3
	s_sleep 1
	s_trap 2
	ds_read_b64 v[4:5], v0
	s_andn2_b64 s[42:43], s[42:43], exec
	s_waitcnt lgkmcnt(0)
	v_cmp_ge_u64_e32 vcc, v[4:5], v[48:49]
	s_orn2_b64 vcc, vcc, exec
	s_branch .LBB6_638
.LBB6_643:                              ;   in Loop: Header=BB6_496 Depth=2
	s_or_b64 exec, exec, s[38:39]
	s_and_saveexec_b64 vcc, s[40:41]
	s_xor_b64 vcc, exec, vcc
	s_cbranch_execz .LBB6_645
; %bb.644:                              ;   in Loop: Header=BB6_496 Depth=2
	ds_write_b32 v0, v57
	s_trap 2
.LBB6_645:                              ;   in Loop: Header=BB6_496 Depth=2
	s_or_b64 exec, exec, s[36:37]
	;;#ASMSTART
	s_wakeup
	;;#ASMEND
.LBB6_646:                              ;   in Loop: Header=BB6_496 Depth=2
	s_or_b64 exec, exec, s[34:35]
.LBB6_647:                              ;   in Loop: Header=BB6_496 Depth=2
	s_andn2_saveexec_b64 vcc, s[30:31]
	s_cbranch_execz .LBB6_649
; %bb.648:                              ;   in Loop: Header=BB6_496 Depth=2
	s_waitcnt vmcnt(0) lgkmcnt(0)
	buffer_wbinvl1_vol
	s_barrier
.LBB6_649:                              ;   in Loop: Header=BB6_496 Depth=2
	s_or_b64 exec, exec, vcc
.LBB6_650:                              ;   in Loop: Header=BB6_496 Depth=2
	s_or_b64 exec, exec, s[28:29]
                                        ; implicit-def: $vgpr4
	s_and_saveexec_b64 s[28:29], s[22:23]
	s_xor_b64 s[30:31], exec, s[28:29]
	s_cbranch_execz .LBB6_654
; %bb.651:                              ;   in Loop: Header=BB6_496 Depth=2
	v_and_b32_e32 v3, 16, v62
	v_cmp_lt_i32_e32 vcc, 0, v25
	v_cmp_ne_u32_e64 s[28:29], 0, v3
	v_and_b32_e32 v4, 16, v62
	s_and_b64 vcc, s[28:29], vcc
	s_and_saveexec_b64 s[28:29], vcc
	s_cbranch_execz .LBB6_653
; %bb.652:                              ;   in Loop: Header=BB6_496 Depth=2
	v_mov_b32_e32 v4, 1
	s_waitcnt vmcnt(0) lgkmcnt(0)
	buffer_wbinvl1_vol
.LBB6_653:                              ;   in Loop: Header=BB6_496 Depth=2
	s_or_b64 exec, exec, s[28:29]
	s_andn2_saveexec_b64 s[28:29], s[30:31]
	s_cbranch_execz .LBB6_673
	s_branch .LBB6_655
.LBB6_654:                              ;   in Loop: Header=BB6_496 Depth=2
	s_andn2_saveexec_b64 s[28:29], s[30:31]
	s_cbranch_execz .LBB6_673
.LBB6_655:                              ;   in Loop: Header=BB6_496 Depth=2
	s_and_saveexec_b64 vcc, s[52:53]
	s_xor_b64 s[30:31], exec, vcc
	s_cbranch_execz .LBB6_670
; %bb.656:                              ;   in Loop: Header=BB6_496 Depth=2
	s_and_saveexec_b64 s[34:35], s[16:17]
	s_cbranch_execz .LBB6_669
; %bb.657:                              ;   in Loop: Header=BB6_496 Depth=2
	s_mov_b64 s[38:39], exec
	v_mbcnt_lo_u32_b32 v3, s38, 0
	v_mbcnt_hi_u32_b32 v3, s39, v3
	v_cmp_eq_u32_e32 vcc, 0, v3
	;;#ASMSTART
	s_waitcnt lgkmcnt(0) vmcnt(0)
	;;#ASMEND
	s_and_saveexec_b64 s[36:37], vcc
	s_cbranch_execz .LBB6_659
; %bb.658:                              ;   in Loop: Header=BB6_496 Depth=2
	s_bcnt1_i32_b64 vcc_lo, s[38:39]
	v_mov_b32_e32 v4, vcc_lo
	v_mov_b32_e32 v5, v52
	ds_add_u64 v0, v[4:5]
	s_trap 2
.LBB6_659:                              ;   in Loop: Header=BB6_496 Depth=2
	s_or_b64 exec, exec, s[36:37]
	s_trap 2
	ds_read_b64 v[4:5], v0
	v_add_co_u32_e32 v48, vcc, v48, v54
	v_addc_co_u32_e32 v49, vcc, 0, v49, vcc
	s_waitcnt lgkmcnt(0)
	v_cmp_lt_u64_e32 vcc, v[4:5], v[48:49]
	s_and_saveexec_b64 s[36:37], vcc
	s_cbranch_execz .LBB6_668
; %bb.660:                              ;   in Loop: Header=BB6_496 Depth=2
	s_mov_b32 s68, 0
	s_mov_b64 s[38:39], 0
                                        ; implicit-def: $sgpr40_sgpr41
                                        ; implicit-def: $sgpr42_sgpr43
	s_branch .LBB6_662
.LBB6_661:                              ;   in Loop: Header=BB6_662 Depth=3
	s_or_b64 exec, exec, s[66:67]
	s_and_b64 vcc, exec, vcc
	s_or_b64 s[38:39], vcc, s[38:39]
	s_andn2_b64 vcc, s[40:41], exec
	s_and_b64 s[40:41], s[42:43], exec
	s_or_b64 s[40:41], vcc, s[40:41]
	s_andn2_b64 exec, exec, s[38:39]
	s_cbranch_execz .LBB6_666
.LBB6_662:                              ;   Parent Loop BB6_47 Depth=1
                                        ;     Parent Loop BB6_496 Depth=2
                                        ; =>    This Inner Loop Header: Depth=3
	s_add_i32 s68, s68, 1
	s_cmpk_lg_i32 s68, 0x2710
	s_cselect_b64 s[44:45], -1, 0
	s_and_b64 vcc, exec, s[44:45]
                                        ; implicit-def: $sgpr66_sgpr67
	s_cbranch_vccnz .LBB6_664
; %bb.663:                              ;   in Loop: Header=BB6_662 Depth=3
	s_trap 2
	ds_read_b64 v[4:5], v0
	s_andn2_b64 s[44:45], s[44:45], exec
	s_mov_b32 s68, 0
	s_mov_b64 s[66:67], -1
	s_waitcnt vmcnt(0) lgkmcnt(0)
	flat_load_dword v3, v[4:5] glc
	s_waitcnt vmcnt(0) lgkmcnt(0)
	buffer_invl2
	buffer_wbinvl1_vol
	v_cmp_eq_u32_e32 vcc, 0, v3
	s_and_b64 vcc, vcc, exec
	s_or_b64 s[44:45], s[44:45], vcc
.LBB6_664:                              ;   in Loop: Header=BB6_662 Depth=3
	s_andn2_b64 s[42:43], s[42:43], exec
	s_and_b64 s[66:67], s[66:67], exec
	s_mov_b64 vcc, -1
	s_or_b64 s[42:43], s[42:43], s[66:67]
	s_and_saveexec_b64 s[66:67], s[44:45]
	s_cbranch_execz .LBB6_661
; %bb.665:                              ;   in Loop: Header=BB6_662 Depth=3
	s_sleep 1
	s_trap 2
	ds_read_b64 v[4:5], v0
	s_andn2_b64 s[42:43], s[42:43], exec
	s_waitcnt lgkmcnt(0)
	v_cmp_ge_u64_e32 vcc, v[4:5], v[48:49]
	s_orn2_b64 vcc, vcc, exec
	s_branch .LBB6_661
.LBB6_666:                              ;   in Loop: Header=BB6_496 Depth=2
	s_or_b64 exec, exec, s[38:39]
	s_and_saveexec_b64 vcc, s[40:41]
	s_xor_b64 vcc, exec, vcc
	s_cbranch_execz .LBB6_668
; %bb.667:                              ;   in Loop: Header=BB6_496 Depth=2
	ds_write_b32 v0, v57
	s_trap 2
.LBB6_668:                              ;   in Loop: Header=BB6_496 Depth=2
	s_or_b64 exec, exec, s[36:37]
	;;#ASMSTART
	s_wakeup
	;;#ASMEND
.LBB6_669:                              ;   in Loop: Header=BB6_496 Depth=2
	s_or_b64 exec, exec, s[34:35]
.LBB6_670:                              ;   in Loop: Header=BB6_496 Depth=2
	s_andn2_saveexec_b64 vcc, s[30:31]
	s_cbranch_execz .LBB6_672
; %bb.671:                              ;   in Loop: Header=BB6_496 Depth=2
	;;#ASMSTART
	s_waitcnt lgkmcnt(0) vmcnt(0)
	;;#ASMEND
	s_barrier
.LBB6_672:                              ;   in Loop: Header=BB6_496 Depth=2
	s_or_b64 exec, exec, vcc
	v_and_b32_e32 v4, 16, v62
.LBB6_673:                              ;   in Loop: Header=BB6_496 Depth=2
	s_or_b64 exec, exec, s[28:29]
	v_cmp_ne_u32_e32 vcc, 0, v4
	s_xor_b64 s[28:29], s[12:13], -1
	s_and_b64 vcc, vcc, s[28:29]
	s_and_saveexec_b64 s[28:29], vcc
	s_cbranch_execz .LBB6_675
; %bb.674:                              ;   in Loop: Header=BB6_496 Depth=2
	flat_store_dword v[46:47], v57
.LBB6_675:                              ;   in Loop: Header=BB6_496 Depth=2
	s_or_b64 exec, exec, s[28:29]
	v_and_b32_e32 v3, 48, v62
	v_cmp_ne_u32_e32 vcc, 0, v3
	s_and_saveexec_b64 s[28:29], vcc
	s_cbranch_execz .LBB6_495
; %bb.676:                              ;   in Loop: Header=BB6_496 Depth=2
	v_add_co_u32_e32 v32, vcc, 2, v32
	v_addc_co_u32_e32 v33, vcc, 0, v33, vcc
	flat_store_dwordx2 v[34:35], v[32:33]
	s_branch .LBB6_495
.LBB6_677:                              ;   in Loop: Header=BB6_47 Depth=1
	s_or_b64 exec, exec, s[62:63]
.LBB6_678:                              ;   in Loop: Header=BB6_47 Depth=1
	s_or_b64 exec, exec, s[60:61]
	v_cmp_gt_i32_e32 vcc, 2, v3
	s_and_saveexec_b64 s[30:31], vcc
	s_cbranch_execz .LBB6_754
; %bb.679:                              ;   in Loop: Header=BB6_47 Depth=1
	v_cmp_eq_u32_e64 s[28:29], 0, v3
	s_mov_b64 s[34:35], 0
	s_branch .LBB6_681
.LBB6_680:                              ;   in Loop: Header=BB6_681 Depth=2
	s_or_b64 exec, exec, s[28:29]
	v_add_u32_e32 v24, v2, v24
	s_mov_b64 s[28:29], 0
	s_andn2_b64 exec, exec, s[34:35]
	s_cbranch_execz .LBB6_753
.LBB6_681:                              ;   Parent Loop BB6_47 Depth=1
                                        ; =>  This Loop Header: Depth=2
                                        ;       Child Loop BB6_687 Depth 3
                                        ;       Child Loop BB6_719 Depth 3
	;; [unrolled: 1-line block ×3, first 2 shown]
	v_and_b32_e32 v3, 12, v62
	s_mov_b64 s[38:39], -1
	v_cmp_ne_u32_e32 vcc, 0, v3
	s_and_saveexec_b64 s[36:37], vcc
	s_cbranch_execz .LBB6_693
; %bb.682:                              ;   in Loop: Header=BB6_681 Depth=2
	v_and_b32_e32 v4, 8, v62
	v_add_co_u32_e32 v10, vcc, v50, v4
	v_addc_co_u32_e32 v11, vcc, 0, v51, vcc
	v_add_co_u32_e32 v8, vcc, 2, v32
	v_addc_co_u32_e32 v9, vcc, 0, v33, vcc
	v_cmp_lt_u64_e32 vcc, v[10:11], v[8:9]
	v_mov_b32_e32 v3, 1
	s_and_saveexec_b64 s[38:39], vcc
	s_cbranch_execz .LBB6_692
; %bb.683:                              ;   in Loop: Header=BB6_681 Depth=2
	s_mov_b64 s[40:41], 0
	v_mov_b32_e32 v3, 0
                                        ; implicit-def: $sgpr42_sgpr43
	s_branch .LBB6_687
.LBB6_684:                              ;   in Loop: Header=BB6_687 Depth=3
	s_or_b64 exec, exec, s[64:65]
	v_mov_b32_e32 v5, 0
	s_orn2_b64 s[62:63], s[62:63], exec
.LBB6_685:                              ;   in Loop: Header=BB6_687 Depth=3
	s_or_b64 exec, exec, s[60:61]
	s_andn2_b64 vcc, s[42:43], exec
	s_and_b64 s[42:43], s[62:63], exec
	s_or_b64 s[42:43], vcc, s[42:43]
	v_mov_b32_e32 v3, v5
.LBB6_686:                              ;   in Loop: Header=BB6_687 Depth=3
	s_or_b64 exec, exec, s[44:45]
	s_waitcnt vmcnt(0) lgkmcnt(0)
	v_add_co_u32_e32 v10, vcc, v50, v4
	v_addc_co_u32_e32 v11, vcc, 0, v51, vcc
	v_cmp_ge_u64_e32 vcc, v[10:11], v[8:9]
	s_xor_b64 s[44:45], s[42:43], -1
	s_or_b64 vcc, s[44:45], vcc
	s_and_b64 vcc, exec, vcc
	s_or_b64 s[40:41], vcc, s[40:41]
	s_andn2_b64 exec, exec, s[40:41]
	s_cbranch_execz .LBB6_691
.LBB6_687:                              ;   Parent Loop BB6_47 Depth=1
                                        ;     Parent Loop BB6_681 Depth=2
                                        ; =>    This Inner Loop Header: Depth=3
	s_sleep 1
	flat_load_dwordx2 v[50:51], v[34:35] glc
	v_and_b32_e32 v5, 64, v62
	v_cmp_eq_u32_e32 vcc, 0, v5
	s_andn2_b64 s[42:43], s[42:43], exec
	s_and_saveexec_b64 s[44:45], vcc
	s_cbranch_execz .LBB6_686
; %bb.688:                              ;   in Loop: Header=BB6_687 Depth=3
	v_add_u32_e32 v5, 1, v3
	v_cmp_lt_i32_e32 vcc, s85, v3
	s_mov_b64 s[62:63], -1
	s_and_saveexec_b64 s[60:61], vcc
	s_cbranch_execz .LBB6_685
; %bb.689:                              ;   in Loop: Header=BB6_687 Depth=3
	s_trap 2
	ds_read_b64 v[10:11], v0
	s_waitcnt vmcnt(0) lgkmcnt(0)
	flat_load_dword v3, v[10:11] glc
	s_waitcnt vmcnt(0) lgkmcnt(0)
	buffer_invl2
	buffer_wbinvl1_vol
	v_cmp_ne_u32_e32 vcc, 0, v3
	s_and_saveexec_b64 s[64:65], vcc
	s_cbranch_execz .LBB6_684
; %bb.690:                              ;   in Loop: Header=BB6_687 Depth=3
	v_or_b32_e32 v62, 64, v62
	s_xor_b64 s[62:63], exec, -1
	ds_write_b32 v0, v3
	s_trap 2
	s_branch .LBB6_684
.LBB6_691:                              ;   in Loop: Header=BB6_681 Depth=2
	s_or_b64 exec, exec, s[40:41]
	v_and_b32_e32 v3, 12, v62
.LBB6_692:                              ;   in Loop: Header=BB6_681 Depth=2
	s_or_b64 exec, exec, s[38:39]
	v_cmp_eq_u32_e32 vcc, 0, v3
	s_orn2_b64 s[38:39], vcc, exec
	;;#ASMSTART
	s_wakeup
	;;#ASMEND
.LBB6_693:                              ;   in Loop: Header=BB6_681 Depth=2
	s_or_b64 exec, exec, s[36:37]
	s_xor_b64 s[28:29], s[28:29], -1
	s_and_b64 s[28:29], exec, s[28:29]
	s_or_b64 s[34:35], s[28:29], s[34:35]
	v_sub_u32_e32 v3, v44, v24
	s_xor_b64 s[28:29], s[38:39], -1
	v_min_i32_e32 v2, v2, v3
	s_and_saveexec_b64 s[36:37], s[28:29]
	s_cbranch_execz .LBB6_711
; %bb.694:                              ;   in Loop: Header=BB6_681 Depth=2
	v_and_b32_e32 v3, 0x108, v62
	v_cmp_ne_u32_e32 vcc, s86, v3
	v_and_b32_e32 v4, 7, v32
	s_and_saveexec_b64 s[28:29], vcc
	s_xor_b64 s[28:29], exec, s[28:29]
                                        ; implicit-def: $vgpr8_vgpr9
; %bb.695:                              ;   in Loop: Header=BB6_681 Depth=2
	v_mov_b32_e32 v9, v52
; %bb.696:                              ;   in Loop: Header=BB6_681 Depth=2
	s_andn2_saveexec_b64 s[28:29], s[28:29]
	s_cbranch_execz .LBB6_698
; %bb.697:                              ;   in Loop: Header=BB6_681 Depth=2
	v_accvgpr_read_b32 v10, a24
	v_accvgpr_read_b32 v11, a25
	v_ashrrev_i32_e32 v3, 31, v2
	v_mov_b32_e32 v9, v52
	v_mad_u64_u32 v[10:11], vcc, v4, 24, v[10:11]
	v_lshlrev_b64 v[12:13], 2, v[2:3]
	flat_store_dwordx2 v[10:11], v[12:13] offset:8
.LBB6_698:                              ;   in Loop: Header=BB6_681 Depth=2
	s_or_b64 exec, exec, s[28:29]
	v_and_b32_e32 v3, 0x100, v62
	v_cmp_ne_u32_e32 vcc, 0, v3
	s_mov_b64 s[28:29], -1
                                        ; implicit-def: $vgpr10_vgpr11
	s_and_saveexec_b64 s[38:39], vcc
	s_cbranch_execz .LBB6_702
; %bb.699:                              ;   in Loop: Header=BB6_681 Depth=2
	v_accvgpr_read_b32 v10, a24
	v_accvgpr_read_b32 v11, a25
	v_mad_u64_u32 v[12:13], s[28:29], v4, 24, v[10:11]
	v_mov_b32_e32 v8, v13
	v_mad_u64_u32 v[10:11], s[28:29], v9, 24, v[8:9]
	v_mov_b32_e32 v13, v10
	flat_load_dword v3, v[12:13]
                                        ; implicit-def: $vgpr10_vgpr11
	s_waitcnt vmcnt(0) lgkmcnt(0)
	v_cmp_ne_u32_e32 vcc, 1, v3
	v_cmp_eq_u32_e64 s[28:29], 1, v3
	s_and_saveexec_b64 s[40:41], s[28:29]
	s_cbranch_execz .LBB6_701
; %bb.700:                              ;   in Loop: Header=BB6_681 Depth=2
	flat_load_dword v10, v[12:13] offset:4 glc
	s_waitcnt vmcnt(0) lgkmcnt(0)
	v_ashrrev_i32_e32 v11, 31, v10
	v_lshrrev_b64 v[10:11], 2, v[10:11]
.LBB6_701:                              ;   in Loop: Header=BB6_681 Depth=2
	s_or_b64 exec, exec, s[40:41]
	s_orn2_b64 s[28:29], vcc, exec
.LBB6_702:                              ;   in Loop: Header=BB6_681 Depth=2
	s_or_b64 exec, exec, s[38:39]
	s_and_saveexec_b64 vcc, s[28:29]
; %bb.703:                              ;   in Loop: Header=BB6_681 Depth=2
	v_mul_lo_u32 v3, v9, v30
	v_mul_lo_u32 v5, v4, v45
	v_mad_u64_u32 v[10:11], s[28:29], v4, v30, 0
	v_add3_u32 v11, v11, v5, v3
; %bb.704:                              ;   in Loop: Header=BB6_681 Depth=2
	s_or_b64 exec, exec, vcc
	v_lshlrev_b64 v[4:5], 2, v[10:11]
	v_add_co_u32_e32 v4, vcc, v36, v4
	v_addc_co_u32_e32 v5, vcc, v37, v5, vcc
	v_and_b32_e32 v3, 0x2000, v62
	v_cmp_ne_u32_e32 vcc, 0, v3
	s_trap 2
	ds_write_b64 v0, v[4:5]
	s_and_saveexec_b64 s[28:29], vcc
	s_cbranch_execz .LBB6_706
; %bb.705:                              ;   in Loop: Header=BB6_681 Depth=2
	ds_read_b64 v[4:5], v0 offset:584
	s_waitcnt lgkmcnt(0)
	v_add_co_u32_e32 v4, vcc, 1, v4
	v_addc_co_u32_e32 v5, vcc, 0, v5, vcc
	ds_write_b64 v0, v[4:5] offset:584
.LBB6_706:                              ;   in Loop: Header=BB6_681 Depth=2
	s_or_b64 exec, exec, s[28:29]
	v_add_co_u32_e32 v32, vcc, 2, v32
	v_addc_co_u32_e32 v33, vcc, 0, v33, vcc
	s_or_b64 exec, exec, s[36:37]
	s_and_saveexec_b64 s[28:29], s[10:11]
	s_cbranch_execnz .LBB6_712
.LBB6_707:                              ;   in Loop: Header=BB6_681 Depth=2
	s_or_b64 exec, exec, s[28:29]
                                        ; implicit-def: $vgpr3
	s_and_saveexec_b64 s[28:29], s[22:23]
	s_xor_b64 s[28:29], exec, s[28:29]
	s_cbranch_execz .LBB6_730
.LBB6_708:                              ;   in Loop: Header=BB6_681 Depth=2
	s_trap 2
	ds_read_b32 v4, v0
	v_cmp_lt_i32_e32 vcc, 0, v2
	v_and_b32_e32 v5, 16, v62
	v_and_b32_e32 v3, 16, v62
	s_waitcnt lgkmcnt(0)
	v_readfirstlane_b32 s36, v4
	s_cmp_eq_u32 s36, 0
	s_cselect_b64 s[36:37], -1, 0
	s_and_b64 s[36:37], vcc, s[36:37]
	v_cmp_ne_u32_e32 vcc, 0, v5
	s_and_b64 s[36:37], vcc, s[36:37]
	s_and_saveexec_b64 vcc, s[36:37]
	s_cbranch_execz .LBB6_710
; %bb.709:                              ;   in Loop: Header=BB6_681 Depth=2
	v_mov_b32_e32 v3, 1
	s_waitcnt vmcnt(0)
	buffer_wbinvl1_vol
.LBB6_710:                              ;   in Loop: Header=BB6_681 Depth=2
	s_or_b64 exec, exec, vcc
	s_andn2_saveexec_b64 s[28:29], s[28:29]
	s_cbranch_execz .LBB6_749
	s_branch .LBB6_731
.LBB6_711:                              ;   in Loop: Header=BB6_681 Depth=2
	s_or_b64 exec, exec, s[36:37]
	s_and_saveexec_b64 s[28:29], s[10:11]
	s_cbranch_execz .LBB6_707
.LBB6_712:                              ;   in Loop: Header=BB6_681 Depth=2
	s_and_saveexec_b64 vcc, s[52:53]
	s_xor_b64 s[36:37], exec, vcc
	s_cbranch_execz .LBB6_727
; %bb.713:                              ;   in Loop: Header=BB6_681 Depth=2
	s_and_saveexec_b64 s[38:39], s[16:17]
	s_cbranch_execz .LBB6_726
; %bb.714:                              ;   in Loop: Header=BB6_681 Depth=2
	s_mov_b64 s[42:43], exec
	v_mbcnt_lo_u32_b32 v3, s42, 0
	v_mbcnt_hi_u32_b32 v3, s43, v3
	v_cmp_eq_u32_e32 vcc, 0, v3
	s_waitcnt vmcnt(0) lgkmcnt(0)
	buffer_wbinvl1_vol
	s_and_saveexec_b64 s[40:41], vcc
	s_cbranch_execz .LBB6_716
; %bb.715:                              ;   in Loop: Header=BB6_681 Depth=2
	s_bcnt1_i32_b64 vcc_lo, s[42:43]
	v_mov_b32_e32 v4, vcc_lo
	v_mov_b32_e32 v5, v52
	ds_add_u64 v0, v[4:5]
	s_trap 2
.LBB6_716:                              ;   in Loop: Header=BB6_681 Depth=2
	s_or_b64 exec, exec, s[40:41]
	s_trap 2
	ds_read_b64 v[4:5], v0
	v_add_co_u32_e32 v48, vcc, v48, v54
	v_addc_co_u32_e32 v49, vcc, 0, v49, vcc
	s_waitcnt lgkmcnt(0)
	v_cmp_lt_u64_e32 vcc, v[4:5], v[48:49]
	s_and_saveexec_b64 s[40:41], vcc
	s_cbranch_execz .LBB6_725
; %bb.717:                              ;   in Loop: Header=BB6_681 Depth=2
	s_mov_b32 s66, 0
	s_mov_b64 s[42:43], 0
                                        ; implicit-def: $sgpr44_sgpr45
                                        ; implicit-def: $sgpr60_sgpr61
	s_branch .LBB6_719
.LBB6_718:                              ;   in Loop: Header=BB6_719 Depth=3
	s_or_b64 exec, exec, s[64:65]
	s_and_b64 vcc, exec, vcc
	s_or_b64 s[42:43], vcc, s[42:43]
	s_andn2_b64 vcc, s[44:45], exec
	s_and_b64 s[44:45], s[60:61], exec
	s_or_b64 s[44:45], vcc, s[44:45]
	s_andn2_b64 exec, exec, s[42:43]
	s_cbranch_execz .LBB6_723
.LBB6_719:                              ;   Parent Loop BB6_47 Depth=1
                                        ;     Parent Loop BB6_681 Depth=2
                                        ; =>    This Inner Loop Header: Depth=3
	s_add_i32 s66, s66, 1
	s_cmpk_lg_i32 s66, 0x2710
	s_cselect_b64 s[62:63], -1, 0
	s_and_b64 vcc, exec, s[62:63]
                                        ; implicit-def: $sgpr64_sgpr65
	s_cbranch_vccnz .LBB6_721
; %bb.720:                              ;   in Loop: Header=BB6_719 Depth=3
	s_trap 2
	ds_read_b64 v[4:5], v0
	s_andn2_b64 s[62:63], s[62:63], exec
	s_mov_b32 s66, 0
	s_mov_b64 s[64:65], -1
	s_waitcnt lgkmcnt(0)
	flat_load_dword v3, v[4:5] glc
	s_waitcnt vmcnt(0) lgkmcnt(0)
	buffer_invl2
	buffer_wbinvl1_vol
	v_cmp_eq_u32_e32 vcc, 0, v3
	s_and_b64 vcc, vcc, exec
	s_or_b64 s[62:63], s[62:63], vcc
.LBB6_721:                              ;   in Loop: Header=BB6_719 Depth=3
	s_andn2_b64 s[60:61], s[60:61], exec
	s_and_b64 s[64:65], s[64:65], exec
	s_mov_b64 vcc, -1
	s_or_b64 s[60:61], s[60:61], s[64:65]
	s_and_saveexec_b64 s[64:65], s[62:63]
	s_cbranch_execz .LBB6_718
; %bb.722:                              ;   in Loop: Header=BB6_719 Depth=3
	s_sleep 1
	s_trap 2
	ds_read_b64 v[4:5], v0
	s_andn2_b64 s[60:61], s[60:61], exec
	s_waitcnt lgkmcnt(0)
	v_cmp_ge_u64_e32 vcc, v[4:5], v[48:49]
	s_orn2_b64 vcc, vcc, exec
	s_branch .LBB6_718
.LBB6_723:                              ;   in Loop: Header=BB6_681 Depth=2
	s_or_b64 exec, exec, s[42:43]
	s_and_saveexec_b64 vcc, s[44:45]
	s_xor_b64 vcc, exec, vcc
	s_cbranch_execz .LBB6_725
; %bb.724:                              ;   in Loop: Header=BB6_681 Depth=2
	ds_write_b32 v0, v57
	s_trap 2
.LBB6_725:                              ;   in Loop: Header=BB6_681 Depth=2
	s_or_b64 exec, exec, s[40:41]
	;;#ASMSTART
	s_wakeup
	;;#ASMEND
.LBB6_726:                              ;   in Loop: Header=BB6_681 Depth=2
	s_or_b64 exec, exec, s[38:39]
.LBB6_727:                              ;   in Loop: Header=BB6_681 Depth=2
	s_andn2_saveexec_b64 vcc, s[36:37]
	s_cbranch_execz .LBB6_729
; %bb.728:                              ;   in Loop: Header=BB6_681 Depth=2
	s_waitcnt vmcnt(0) lgkmcnt(0)
	buffer_wbinvl1_vol
	s_barrier
.LBB6_729:                              ;   in Loop: Header=BB6_681 Depth=2
	s_or_b64 exec, exec, vcc
	s_or_b64 exec, exec, s[28:29]
                                        ; implicit-def: $vgpr3
	s_and_saveexec_b64 s[28:29], s[22:23]
	s_xor_b64 s[28:29], exec, s[28:29]
	s_cbranch_execnz .LBB6_708
.LBB6_730:                              ;   in Loop: Header=BB6_681 Depth=2
	s_andn2_saveexec_b64 s[28:29], s[28:29]
	s_cbranch_execz .LBB6_749
.LBB6_731:                              ;   in Loop: Header=BB6_681 Depth=2
	s_and_saveexec_b64 vcc, s[52:53]
	s_xor_b64 s[36:37], exec, vcc
	s_cbranch_execz .LBB6_746
; %bb.732:                              ;   in Loop: Header=BB6_681 Depth=2
	s_and_saveexec_b64 s[38:39], s[16:17]
	s_cbranch_execz .LBB6_745
; %bb.733:                              ;   in Loop: Header=BB6_681 Depth=2
	s_mov_b64 s[42:43], exec
	v_mbcnt_lo_u32_b32 v3, s42, 0
	v_mbcnt_hi_u32_b32 v3, s43, v3
	v_cmp_eq_u32_e32 vcc, 0, v3
	;;#ASMSTART
	s_waitcnt lgkmcnt(0) vmcnt(0)
	;;#ASMEND
	s_and_saveexec_b64 s[40:41], vcc
	s_cbranch_execz .LBB6_735
; %bb.734:                              ;   in Loop: Header=BB6_681 Depth=2
	s_bcnt1_i32_b64 vcc_lo, s[42:43]
	v_mov_b32_e32 v4, vcc_lo
	v_mov_b32_e32 v5, v52
	ds_add_u64 v0, v[4:5]
	s_trap 2
.LBB6_735:                              ;   in Loop: Header=BB6_681 Depth=2
	s_or_b64 exec, exec, s[40:41]
	s_trap 2
	ds_read_b64 v[4:5], v0
	v_add_co_u32_e32 v48, vcc, v48, v54
	v_addc_co_u32_e32 v49, vcc, 0, v49, vcc
	s_waitcnt lgkmcnt(0)
	v_cmp_lt_u64_e32 vcc, v[4:5], v[48:49]
	s_and_saveexec_b64 s[40:41], vcc
	s_cbranch_execz .LBB6_744
; %bb.736:                              ;   in Loop: Header=BB6_681 Depth=2
	s_mov_b32 s66, 0
	s_mov_b64 s[42:43], 0
                                        ; implicit-def: $sgpr44_sgpr45
                                        ; implicit-def: $sgpr60_sgpr61
	s_branch .LBB6_738
.LBB6_737:                              ;   in Loop: Header=BB6_738 Depth=3
	s_or_b64 exec, exec, s[64:65]
	s_and_b64 vcc, exec, vcc
	s_or_b64 s[42:43], vcc, s[42:43]
	s_andn2_b64 vcc, s[44:45], exec
	s_and_b64 s[44:45], s[60:61], exec
	s_or_b64 s[44:45], vcc, s[44:45]
	s_andn2_b64 exec, exec, s[42:43]
	s_cbranch_execz .LBB6_742
.LBB6_738:                              ;   Parent Loop BB6_47 Depth=1
                                        ;     Parent Loop BB6_681 Depth=2
                                        ; =>    This Inner Loop Header: Depth=3
	s_add_i32 s66, s66, 1
	s_cmpk_lg_i32 s66, 0x2710
	s_cselect_b64 s[62:63], -1, 0
	s_and_b64 vcc, exec, s[62:63]
                                        ; implicit-def: $sgpr64_sgpr65
	s_cbranch_vccnz .LBB6_740
; %bb.739:                              ;   in Loop: Header=BB6_738 Depth=3
	s_trap 2
	ds_read_b64 v[4:5], v0
	s_andn2_b64 s[62:63], s[62:63], exec
	s_mov_b32 s66, 0
	s_mov_b64 s[64:65], -1
	s_waitcnt vmcnt(0) lgkmcnt(0)
	flat_load_dword v3, v[4:5] glc
	s_waitcnt vmcnt(0) lgkmcnt(0)
	buffer_invl2
	buffer_wbinvl1_vol
	v_cmp_eq_u32_e32 vcc, 0, v3
	s_and_b64 vcc, vcc, exec
	s_or_b64 s[62:63], s[62:63], vcc
.LBB6_740:                              ;   in Loop: Header=BB6_738 Depth=3
	s_andn2_b64 s[60:61], s[60:61], exec
	s_and_b64 s[64:65], s[64:65], exec
	s_mov_b64 vcc, -1
	s_or_b64 s[60:61], s[60:61], s[64:65]
	s_and_saveexec_b64 s[64:65], s[62:63]
	s_cbranch_execz .LBB6_737
; %bb.741:                              ;   in Loop: Header=BB6_738 Depth=3
	s_sleep 1
	s_trap 2
	ds_read_b64 v[4:5], v0
	s_andn2_b64 s[60:61], s[60:61], exec
	s_waitcnt lgkmcnt(0)
	v_cmp_ge_u64_e32 vcc, v[4:5], v[48:49]
	s_orn2_b64 vcc, vcc, exec
	s_branch .LBB6_737
.LBB6_742:                              ;   in Loop: Header=BB6_681 Depth=2
	s_or_b64 exec, exec, s[42:43]
	s_and_saveexec_b64 vcc, s[44:45]
	s_xor_b64 vcc, exec, vcc
	s_cbranch_execz .LBB6_744
; %bb.743:                              ;   in Loop: Header=BB6_681 Depth=2
	ds_write_b32 v0, v57
	s_trap 2
.LBB6_744:                              ;   in Loop: Header=BB6_681 Depth=2
	s_or_b64 exec, exec, s[40:41]
	;;#ASMSTART
	s_wakeup
	;;#ASMEND
.LBB6_745:                              ;   in Loop: Header=BB6_681 Depth=2
	s_or_b64 exec, exec, s[38:39]
.LBB6_746:                              ;   in Loop: Header=BB6_681 Depth=2
	s_andn2_saveexec_b64 vcc, s[36:37]
	s_cbranch_execz .LBB6_748
; %bb.747:                              ;   in Loop: Header=BB6_681 Depth=2
	;;#ASMSTART
	s_waitcnt lgkmcnt(0) vmcnt(0)
	;;#ASMEND
	s_barrier
.LBB6_748:                              ;   in Loop: Header=BB6_681 Depth=2
	s_or_b64 exec, exec, vcc
	v_and_b32_e32 v3, 16, v62
.LBB6_749:                              ;   in Loop: Header=BB6_681 Depth=2
	s_or_b64 exec, exec, s[28:29]
	v_cmp_ne_u32_e32 vcc, 0, v3
	s_xor_b64 s[28:29], s[12:13], -1
	s_and_b64 vcc, vcc, s[28:29]
	s_and_saveexec_b64 s[28:29], vcc
	s_cbranch_execz .LBB6_751
; %bb.750:                              ;   in Loop: Header=BB6_681 Depth=2
	flat_store_dword v[46:47], v57
.LBB6_751:                              ;   in Loop: Header=BB6_681 Depth=2
	s_or_b64 exec, exec, s[28:29]
	v_and_b32_e32 v3, 48, v62
	v_cmp_ne_u32_e32 vcc, 0, v3
	s_and_saveexec_b64 s[28:29], vcc
	s_cbranch_execz .LBB6_680
; %bb.752:                              ;   in Loop: Header=BB6_681 Depth=2
	v_add_co_u32_e32 v32, vcc, 2, v32
	v_addc_co_u32_e32 v33, vcc, 0, v33, vcc
	flat_store_dwordx2 v[34:35], v[32:33]
	s_branch .LBB6_680
.LBB6_753:                              ;   in Loop: Header=BB6_47 Depth=1
	s_or_b64 exec, exec, s[34:35]
.LBB6_754:                              ;   in Loop: Header=BB6_47 Depth=1
	s_or_b64 exec, exec, s[30:31]
	v_accvgpr_read_b32 v24, a28
	s_and_b64 vcc, exec, s[26:27]
	v_mov_b32_e32 v23, v7
	v_accvgpr_read_b32 v25, a29
	s_cbranch_vccnz .LBB6_1015
; %bb.755:                              ;   in Loop: Header=BB6_47 Depth=1
	s_mov_b32 s66, 1
.LBB6_756:                              ;   Parent Loop BB6_47 Depth=1
                                        ; =>  This Loop Header: Depth=2
                                        ;       Child Loop BB6_759 Depth 3
                                        ;         Child Loop BB6_767 Depth 4
                                        ;         Child Loop BB6_795 Depth 4
	;; [unrolled: 1-line block ×9, first 2 shown]
                                        ;           Child Loop BB6_855 Depth 5
                                        ;         Child Loop BB6_864 Depth 4
                                        ;         Child Loop BB6_869 Depth 4
                                        ;           Child Loop BB6_870 Depth 5
                                        ;         Child Loop BB6_842 Depth 4
                                        ;         Child Loop BB6_921 Depth 4
                                        ;       Child Loop BB6_940 Depth 3
                                        ;         Child Loop BB6_946 Depth 4
                                        ;         Child Loop BB6_978 Depth 4
	;; [unrolled: 1-line block ×3, first 2 shown]
	s_sub_i32 s26, s78, s66
	s_cmp_le_i32 s72, s26
	s_cselect_b32 s27, s72, 0
	s_sub_i32 s26, s26, s27
	v_accvgpr_read_b32 v8, a30
	s_ashr_i32 s27, s26, 31
	v_accvgpr_read_b32 v9, a31
	v_mul_lo_u32 v4, v8, s27
	v_mul_lo_u32 v5, v9, s26
	v_mad_u64_u32 v[2:3], s[26:27], v8, s26, 0
	v_add3_u32 v3, v3, v4, v5
	v_accvgpr_read_b32 v4, a32
	v_accvgpr_read_b32 v5, a33
	v_sub_co_u32_e32 v4, vcc, v4, v2
	v_subb_co_u32_e32 v5, vcc, v5, v3, vcc
	v_cmp_lt_i64_e32 vcc, v[8:9], v[4:5]
	v_cndmask_b32_e32 v4, v4, v8, vcc
	s_waitcnt vmcnt(0)
	v_max_i32_e32 v20, 0, v4
	v_add_u32_e32 v5, 31, v20
	v_lshrrev_b32_e32 v5, 1, v5
	v_and_b32_e32 v5, 0x3ffffff0, v5
	v_cmp_lt_i32_e32 vcc, 0, v4
	v_max_i32_e32 v14, s81, v5
	s_and_b64 s[26:27], s[58:59], vcc
	v_mov_b32_e32 v4, 0
	v_mov_b32_e32 v16, 0
	s_and_saveexec_b64 s[36:37], s[26:27]
	s_cbranch_execz .LBB6_937
; %bb.757:                              ;   in Loop: Header=BB6_756 Depth=2
	v_accvgpr_read_b32 v4, a34
	v_accvgpr_read_b32 v5, a35
	v_add_co_u32_e32 v2, vcc, v2, v4
	v_addc_co_u32_e32 v3, vcc, v3, v5, vcc
	s_mov_b32 s67, 1
	s_mov_b64 s[40:41], -1
	s_mov_b64 s[38:39], 0
	v_mov_b32_e32 v16, 0
	v_lshlrev_b64 v[18:19], 2, v[2:3]
	s_branch .LBB6_759
.LBB6_758:                              ;   in Loop: Header=BB6_759 Depth=3
	s_or_b64 exec, exec, s[26:27]
	v_add_u32_e32 v16, v14, v16
	v_cmp_ge_i32_e32 vcc, v16, v20
	s_xor_b64 s[26:27], s[40:41], -1
	s_or_b64 s[26:27], s[26:27], vcc
	s_and_b64 s[26:27], exec, s[26:27]
	s_or_b64 s[38:39], s[26:27], s[38:39]
	s_mov_b64 s[40:41], 0
	v_mov_b32_e32 v4, s67
	s_mov_b32 s67, 2
	s_andn2_b64 exec, exec, s[38:39]
	s_cbranch_execz .LBB6_936
.LBB6_759:                              ;   Parent Loop BB6_47 Depth=1
                                        ;     Parent Loop BB6_756 Depth=2
                                        ; =>    This Loop Header: Depth=3
                                        ;         Child Loop BB6_767 Depth 4
                                        ;         Child Loop BB6_795 Depth 4
	;; [unrolled: 1-line block ×9, first 2 shown]
                                        ;           Child Loop BB6_855 Depth 5
                                        ;         Child Loop BB6_864 Depth 4
                                        ;         Child Loop BB6_869 Depth 4
                                        ;           Child Loop BB6_870 Depth 5
                                        ;         Child Loop BB6_842 Depth 4
                                        ;         Child Loop BB6_921 Depth 4
	s_and_saveexec_b64 s[26:27], s[4:5]
	s_cbranch_execz .LBB6_761
; %bb.760:                              ;   in Loop: Header=BB6_759 Depth=3
	s_trap 2
	ds_read_b128 v[2:5], v0
	v_ashrrev_i32_e32 v17, 31, v16
	s_waitcnt lgkmcnt(0)
	v_add_co_u32_e32 v8, vcc, v2, v18
	v_addc_co_u32_e32 v9, vcc, v3, v19, vcc
	v_lshlrev_b64 v[2:3], 2, v[16:17]
	v_add_co_u32_e32 v8, vcc, v8, v2
	v_addc_co_u32_e32 v9, vcc, v9, v3, vcc
	ds_write_b64 v0, v[8:9]
	v_add_co_u32_e32 v8, vcc, v4, v18
	v_addc_co_u32_e32 v9, vcc, v5, v19, vcc
	v_add_co_u32_e32 v2, vcc, v8, v2
	v_addc_co_u32_e32 v3, vcc, v9, v3, vcc
	v_cmp_ne_u64_e32 vcc, 0, v[4:5]
	v_cndmask_b32_e32 v3, 0, v3, vcc
	v_cndmask_b32_e32 v2, 0, v2, vcc
	ds_write_b64 v0, v[2:3]
.LBB6_761:                              ;   in Loop: Header=BB6_759 Depth=3
	s_or_b64 exec, exec, s[26:27]
	v_and_b32_e32 v2, 12, v62
	v_cmp_ne_u32_e32 vcc, 0, v2
	s_mov_b64 s[28:29], -1
	s_and_saveexec_b64 s[26:27], vcc
	s_cbranch_execz .LBB6_773
; %bb.762:                              ;   in Loop: Header=BB6_759 Depth=3
	v_and_b32_e32 v2, 8, v62
	v_add_co_u32_e32 v8, vcc, v50, v2
	v_addc_co_u32_e32 v9, vcc, 0, v51, vcc
	v_add_co_u32_e32 v4, vcc, 2, v32
	v_addc_co_u32_e32 v5, vcc, 0, v33, vcc
	v_cmp_lt_u64_e32 vcc, v[8:9], v[4:5]
	v_mov_b32_e32 v3, 1
	s_and_saveexec_b64 s[28:29], vcc
	s_cbranch_execz .LBB6_772
; %bb.763:                              ;   in Loop: Header=BB6_759 Depth=3
	s_mov_b64 s[30:31], 0
	v_mov_b32_e32 v3, 0
                                        ; implicit-def: $sgpr34_sgpr35
	s_branch .LBB6_767
.LBB6_764:                              ;   in Loop: Header=BB6_767 Depth=4
	s_or_b64 exec, exec, s[62:63]
	v_mov_b32_e32 v8, 0
	s_orn2_b64 s[60:61], s[60:61], exec
.LBB6_765:                              ;   in Loop: Header=BB6_767 Depth=4
	s_or_b64 exec, exec, s[44:45]
	s_andn2_b64 vcc, s[34:35], exec
	s_and_b64 s[34:35], s[60:61], exec
	s_or_b64 s[34:35], vcc, s[34:35]
	v_mov_b32_e32 v3, v8
.LBB6_766:                              ;   in Loop: Header=BB6_767 Depth=4
	s_or_b64 exec, exec, s[42:43]
	s_waitcnt vmcnt(0) lgkmcnt(0)
	v_add_co_u32_e32 v8, vcc, v50, v2
	v_addc_co_u32_e32 v9, vcc, 0, v51, vcc
	v_cmp_ge_u64_e32 vcc, v[8:9], v[4:5]
	s_xor_b64 s[42:43], s[34:35], -1
	s_or_b64 vcc, s[42:43], vcc
	s_and_b64 vcc, exec, vcc
	s_or_b64 s[30:31], vcc, s[30:31]
	s_andn2_b64 exec, exec, s[30:31]
	s_cbranch_execz .LBB6_771
.LBB6_767:                              ;   Parent Loop BB6_47 Depth=1
                                        ;     Parent Loop BB6_756 Depth=2
                                        ;       Parent Loop BB6_759 Depth=3
                                        ; =>      This Inner Loop Header: Depth=4
	s_sleep 1
	flat_load_dwordx2 v[50:51], v[34:35] glc
	v_and_b32_e32 v8, 64, v62
	v_cmp_eq_u32_e32 vcc, 0, v8
	s_andn2_b64 s[34:35], s[34:35], exec
	s_and_saveexec_b64 s[42:43], vcc
	s_cbranch_execz .LBB6_766
; %bb.768:                              ;   in Loop: Header=BB6_767 Depth=4
	v_add_u32_e32 v8, 1, v3
	v_cmp_lt_i32_e32 vcc, s85, v3
	s_mov_b64 s[60:61], -1
	s_and_saveexec_b64 s[44:45], vcc
	s_cbranch_execz .LBB6_765
; %bb.769:                              ;   in Loop: Header=BB6_767 Depth=4
	s_trap 2
	ds_read_b64 v[8:9], v0
	s_waitcnt vmcnt(0) lgkmcnt(0)
	flat_load_dword v3, v[8:9] glc
	s_waitcnt vmcnt(0) lgkmcnt(0)
	buffer_invl2
	buffer_wbinvl1_vol
	v_cmp_ne_u32_e32 vcc, 0, v3
	s_and_saveexec_b64 s[62:63], vcc
	s_cbranch_execz .LBB6_764
; %bb.770:                              ;   in Loop: Header=BB6_767 Depth=4
	v_or_b32_e32 v62, 64, v62
	s_xor_b64 s[60:61], exec, -1
	ds_write_b32 v0, v3
	s_trap 2
	s_branch .LBB6_764
.LBB6_771:                              ;   in Loop: Header=BB6_759 Depth=3
	s_or_b64 exec, exec, s[30:31]
	v_and_b32_e32 v3, 12, v62
.LBB6_772:                              ;   in Loop: Header=BB6_759 Depth=3
	s_or_b64 exec, exec, s[28:29]
	v_cmp_eq_u32_e32 vcc, 0, v3
	s_orn2_b64 s[28:29], vcc, exec
	;;#ASMSTART
	s_wakeup
	;;#ASMEND
.LBB6_773:                              ;   in Loop: Header=BB6_759 Depth=3
	s_or_b64 exec, exec, s[26:27]
	v_sub_u32_e32 v2, v20, v16
	s_xor_b64 s[26:27], s[28:29], -1
	v_min_i32_e32 v14, v14, v2
	s_and_saveexec_b64 s[28:29], s[26:27]
	s_cbranch_execz .LBB6_787
; %bb.774:                              ;   in Loop: Header=BB6_759 Depth=3
	v_and_b32_e32 v2, 0x108, v62
	v_cmp_ne_u32_e32 vcc, s86, v2
	v_and_b32_e32 v2, 7, v32
	s_and_saveexec_b64 s[26:27], vcc
	s_xor_b64 s[26:27], exec, s[26:27]
                                        ; implicit-def: $vgpr4_vgpr5
; %bb.775:                              ;   in Loop: Header=BB6_759 Depth=3
	v_mov_b32_e32 v5, v52
; %bb.776:                              ;   in Loop: Header=BB6_759 Depth=3
	s_andn2_saveexec_b64 s[26:27], s[26:27]
	s_cbranch_execz .LBB6_778
; %bb.777:                              ;   in Loop: Header=BB6_759 Depth=3
	v_accvgpr_read_b32 v8, a24
	v_accvgpr_read_b32 v9, a25
	v_ashrrev_i32_e32 v15, 31, v14
	v_mov_b32_e32 v5, v52
	v_mad_u64_u32 v[8:9], vcc, v2, 24, v[8:9]
	v_lshlrev_b64 v[10:11], 2, v[14:15]
	flat_store_dwordx2 v[8:9], v[10:11] offset:8
.LBB6_778:                              ;   in Loop: Header=BB6_759 Depth=3
	s_or_b64 exec, exec, s[26:27]
	v_and_b32_e32 v3, 0x100, v62
	v_cmp_ne_u32_e32 vcc, 0, v3
	s_mov_b64 s[26:27], -1
                                        ; implicit-def: $vgpr8_vgpr9
	s_and_saveexec_b64 s[30:31], vcc
	s_cbranch_execz .LBB6_782
; %bb.779:                              ;   in Loop: Header=BB6_759 Depth=3
	v_accvgpr_read_b32 v8, a24
	v_accvgpr_read_b32 v9, a25
	v_mad_u64_u32 v[10:11], s[26:27], v2, 24, v[8:9]
	v_mov_b32_e32 v4, v11
	v_mad_u64_u32 v[8:9], s[26:27], v5, 24, v[4:5]
	v_mov_b32_e32 v11, v8
	flat_load_dword v3, v[10:11]
                                        ; implicit-def: $vgpr8_vgpr9
	s_waitcnt vmcnt(0) lgkmcnt(0)
	v_cmp_ne_u32_e32 vcc, 1, v3
	v_cmp_eq_u32_e64 s[26:27], 1, v3
	s_and_saveexec_b64 s[34:35], s[26:27]
	s_cbranch_execz .LBB6_781
; %bb.780:                              ;   in Loop: Header=BB6_759 Depth=3
	flat_load_dword v8, v[10:11] offset:4 glc
	s_waitcnt vmcnt(0) lgkmcnt(0)
	v_ashrrev_i32_e32 v9, 31, v8
	v_lshrrev_b64 v[8:9], 2, v[8:9]
.LBB6_781:                              ;   in Loop: Header=BB6_759 Depth=3
	s_or_b64 exec, exec, s[34:35]
	s_orn2_b64 s[26:27], vcc, exec
.LBB6_782:                              ;   in Loop: Header=BB6_759 Depth=3
	s_or_b64 exec, exec, s[30:31]
	s_and_saveexec_b64 vcc, s[26:27]
; %bb.783:                              ;   in Loop: Header=BB6_759 Depth=3
	v_mul_lo_u32 v3, v5, v30
	v_mul_lo_u32 v4, v2, v45
	v_mad_u64_u32 v[8:9], s[26:27], v2, v30, 0
	v_add3_u32 v9, v9, v4, v3
; %bb.784:                              ;   in Loop: Header=BB6_759 Depth=3
	s_or_b64 exec, exec, vcc
	v_lshlrev_b64 v[2:3], 2, v[8:9]
	v_add_co_u32_e32 v2, vcc, v36, v2
	v_addc_co_u32_e32 v3, vcc, v37, v3, vcc
	s_trap 2
	ds_write_b64 v0, v[2:3]
	v_and_b32_e32 v2, 0x2000, v62
	v_cmp_ne_u32_e32 vcc, 0, v2
	s_and_saveexec_b64 s[26:27], vcc
	s_cbranch_execz .LBB6_786
; %bb.785:                              ;   in Loop: Header=BB6_759 Depth=3
	ds_read_b64 v[2:3], v0 offset:584
	s_waitcnt lgkmcnt(0)
	v_add_co_u32_e32 v2, vcc, 1, v2
	v_addc_co_u32_e32 v3, vcc, 0, v3, vcc
	ds_write_b64 v0, v[2:3] offset:584
.LBB6_786:                              ;   in Loop: Header=BB6_759 Depth=3
	s_or_b64 exec, exec, s[26:27]
	v_add_co_u32_e32 v32, vcc, 2, v32
	v_addc_co_u32_e32 v33, vcc, 0, v33, vcc
.LBB6_787:                              ;   in Loop: Header=BB6_759 Depth=3
	s_or_b64 exec, exec, s[28:29]
	s_and_saveexec_b64 s[26:27], s[10:11]
	s_cbranch_execz .LBB6_806
; %bb.788:                              ;   in Loop: Header=BB6_759 Depth=3
	s_and_saveexec_b64 s[28:29], s[52:53]
	s_xor_b64 s[28:29], exec, s[28:29]
	s_cbranch_execz .LBB6_803
; %bb.789:                              ;   in Loop: Header=BB6_759 Depth=3
	s_and_saveexec_b64 s[30:31], s[16:17]
	s_cbranch_execz .LBB6_802
; %bb.790:                              ;   in Loop: Header=BB6_759 Depth=3
	s_mov_b64 s[42:43], exec
	v_mbcnt_lo_u32_b32 v2, s42, 0
	v_mbcnt_hi_u32_b32 v2, s43, v2
	v_cmp_eq_u32_e32 vcc, 0, v2
	s_waitcnt vmcnt(0) lgkmcnt(0)
	buffer_wbinvl1_vol
	s_and_saveexec_b64 s[34:35], vcc
	s_cbranch_execz .LBB6_792
; %bb.791:                              ;   in Loop: Header=BB6_759 Depth=3
	s_bcnt1_i32_b64 vcc_lo, s[42:43]
	v_mov_b32_e32 v2, vcc_lo
	v_mov_b32_e32 v3, v52
	ds_add_u64 v0, v[2:3]
	s_trap 2
.LBB6_792:                              ;   in Loop: Header=BB6_759 Depth=3
	s_or_b64 exec, exec, s[34:35]
	s_trap 2
	ds_read_b64 v[2:3], v0
	v_add_co_u32_e32 v48, vcc, v48, v54
	v_addc_co_u32_e32 v49, vcc, 0, v49, vcc
	s_waitcnt lgkmcnt(0)
	v_cmp_lt_u64_e32 vcc, v[2:3], v[48:49]
	s_and_saveexec_b64 s[34:35], vcc
	s_cbranch_execz .LBB6_801
; %bb.793:                              ;   in Loop: Header=BB6_759 Depth=3
	s_mov_b32 s68, 0
	s_mov_b64 s[42:43], 0
                                        ; implicit-def: $sgpr44_sgpr45
                                        ; implicit-def: $sgpr60_sgpr61
	s_branch .LBB6_795
.LBB6_794:                              ;   in Loop: Header=BB6_795 Depth=4
	s_or_b64 exec, exec, s[64:65]
	s_and_b64 vcc, exec, vcc
	s_or_b64 s[42:43], vcc, s[42:43]
	s_andn2_b64 vcc, s[44:45], exec
	s_and_b64 s[44:45], s[60:61], exec
	s_or_b64 s[44:45], vcc, s[44:45]
	s_andn2_b64 exec, exec, s[42:43]
	s_cbranch_execz .LBB6_799
.LBB6_795:                              ;   Parent Loop BB6_47 Depth=1
                                        ;     Parent Loop BB6_756 Depth=2
                                        ;       Parent Loop BB6_759 Depth=3
                                        ; =>      This Inner Loop Header: Depth=4
	s_add_i32 s68, s68, 1
	s_cmpk_lg_i32 s68, 0x2710
	s_cselect_b64 s[62:63], -1, 0
	s_and_b64 vcc, exec, s[62:63]
                                        ; implicit-def: $sgpr64_sgpr65
	s_cbranch_vccnz .LBB6_797
; %bb.796:                              ;   in Loop: Header=BB6_795 Depth=4
	s_trap 2
	ds_read_b64 v[2:3], v0
	s_andn2_b64 s[62:63], s[62:63], exec
	s_mov_b32 s68, 0
	s_mov_b64 s[64:65], -1
	s_waitcnt lgkmcnt(0)
	flat_load_dword v2, v[2:3] glc
	s_waitcnt vmcnt(0) lgkmcnt(0)
	buffer_invl2
	buffer_wbinvl1_vol
	v_cmp_eq_u32_e32 vcc, 0, v2
	s_and_b64 vcc, vcc, exec
	s_or_b64 s[62:63], s[62:63], vcc
.LBB6_797:                              ;   in Loop: Header=BB6_795 Depth=4
	s_andn2_b64 s[60:61], s[60:61], exec
	s_and_b64 s[64:65], s[64:65], exec
	s_mov_b64 vcc, -1
	s_or_b64 s[60:61], s[60:61], s[64:65]
	s_and_saveexec_b64 s[64:65], s[62:63]
	s_cbranch_execz .LBB6_794
; %bb.798:                              ;   in Loop: Header=BB6_795 Depth=4
	s_sleep 1
	s_trap 2
	ds_read_b64 v[2:3], v0
	s_andn2_b64 s[60:61], s[60:61], exec
	s_waitcnt lgkmcnt(0)
	v_cmp_ge_u64_e32 vcc, v[2:3], v[48:49]
	s_orn2_b64 vcc, vcc, exec
	s_branch .LBB6_794
.LBB6_799:                              ;   in Loop: Header=BB6_759 Depth=3
	s_or_b64 exec, exec, s[42:43]
	s_and_saveexec_b64 vcc, s[44:45]
	s_xor_b64 vcc, exec, vcc
	s_cbranch_execz .LBB6_801
; %bb.800:                              ;   in Loop: Header=BB6_759 Depth=3
	ds_write_b32 v0, v57
	s_trap 2
.LBB6_801:                              ;   in Loop: Header=BB6_759 Depth=3
	s_or_b64 exec, exec, s[34:35]
	;;#ASMSTART
	s_wakeup
	;;#ASMEND
.LBB6_802:                              ;   in Loop: Header=BB6_759 Depth=3
	s_or_b64 exec, exec, s[30:31]
.LBB6_803:                              ;   in Loop: Header=BB6_759 Depth=3
	s_andn2_saveexec_b64 s[28:29], s[28:29]
	s_cbranch_execz .LBB6_805
; %bb.804:                              ;   in Loop: Header=BB6_759 Depth=3
	s_waitcnt vmcnt(0) lgkmcnt(0)
	buffer_wbinvl1_vol
	s_barrier
.LBB6_805:                              ;   in Loop: Header=BB6_759 Depth=3
	s_or_b64 exec, exec, s[28:29]
.LBB6_806:                              ;   in Loop: Header=BB6_759 Depth=3
	s_or_b64 exec, exec, s[26:27]
	s_trap 2
	ds_read_b32 v2, v0
	v_and_b32_e32 v3, 0x4000, v62
	v_cmp_ne_u32_e32 vcc, 0, v3
	s_xor_b64 s[26:27], s[6:7], -1
	s_and_b64 s[28:29], s[26:27], vcc
	s_and_saveexec_b64 s[26:27], s[28:29]
	s_cbranch_execz .LBB6_825
; %bb.807:                              ;   in Loop: Header=BB6_759 Depth=3
	s_and_saveexec_b64 s[28:29], s[52:53]
	s_xor_b64 s[28:29], exec, s[28:29]
	s_cbranch_execz .LBB6_822
; %bb.808:                              ;   in Loop: Header=BB6_759 Depth=3
	s_and_saveexec_b64 s[30:31], s[16:17]
	s_cbranch_execz .LBB6_821
; %bb.809:                              ;   in Loop: Header=BB6_759 Depth=3
	s_mov_b64 s[42:43], exec
	v_mbcnt_lo_u32_b32 v3, s42, 0
	v_mbcnt_hi_u32_b32 v3, s43, v3
	v_cmp_eq_u32_e32 vcc, 0, v3
	s_waitcnt vmcnt(0) lgkmcnt(0)
	buffer_wbinvl1_vol
	s_and_saveexec_b64 s[34:35], vcc
	s_cbranch_execz .LBB6_811
; %bb.810:                              ;   in Loop: Header=BB6_759 Depth=3
	s_bcnt1_i32_b64 vcc_lo, s[42:43]
	v_mov_b32_e32 v4, vcc_lo
	v_mov_b32_e32 v5, v52
	ds_add_u64 v0, v[4:5]
	s_trap 2
.LBB6_811:                              ;   in Loop: Header=BB6_759 Depth=3
	s_or_b64 exec, exec, s[34:35]
	s_trap 2
	ds_read_b64 v[4:5], v0
	v_add_co_u32_e32 v48, vcc, v48, v54
	v_addc_co_u32_e32 v49, vcc, 0, v49, vcc
	s_waitcnt lgkmcnt(0)
	v_cmp_lt_u64_e32 vcc, v[4:5], v[48:49]
	s_and_saveexec_b64 s[34:35], vcc
	s_cbranch_execz .LBB6_820
; %bb.812:                              ;   in Loop: Header=BB6_759 Depth=3
	s_mov_b32 s68, 0
	s_mov_b64 s[42:43], 0
                                        ; implicit-def: $sgpr44_sgpr45
                                        ; implicit-def: $sgpr60_sgpr61
	s_branch .LBB6_814
.LBB6_813:                              ;   in Loop: Header=BB6_814 Depth=4
	s_or_b64 exec, exec, s[64:65]
	s_and_b64 vcc, exec, vcc
	s_or_b64 s[42:43], vcc, s[42:43]
	s_andn2_b64 vcc, s[44:45], exec
	s_and_b64 s[44:45], s[60:61], exec
	s_or_b64 s[44:45], vcc, s[44:45]
	s_andn2_b64 exec, exec, s[42:43]
	s_cbranch_execz .LBB6_818
.LBB6_814:                              ;   Parent Loop BB6_47 Depth=1
                                        ;     Parent Loop BB6_756 Depth=2
                                        ;       Parent Loop BB6_759 Depth=3
                                        ; =>      This Inner Loop Header: Depth=4
	s_add_i32 s68, s68, 1
	s_cmpk_lg_i32 s68, 0x2710
	s_cselect_b64 s[62:63], -1, 0
	s_and_b64 vcc, exec, s[62:63]
                                        ; implicit-def: $sgpr64_sgpr65
	s_cbranch_vccnz .LBB6_816
; %bb.815:                              ;   in Loop: Header=BB6_814 Depth=4
	s_trap 2
	ds_read_b64 v[4:5], v0
	s_andn2_b64 s[62:63], s[62:63], exec
	s_mov_b32 s68, 0
	s_mov_b64 s[64:65], -1
	s_waitcnt lgkmcnt(0)
	flat_load_dword v3, v[4:5] glc
	s_waitcnt vmcnt(0) lgkmcnt(0)
	buffer_invl2
	buffer_wbinvl1_vol
	v_cmp_eq_u32_e32 vcc, 0, v3
	s_and_b64 vcc, vcc, exec
	s_or_b64 s[62:63], s[62:63], vcc
.LBB6_816:                              ;   in Loop: Header=BB6_814 Depth=4
	s_andn2_b64 s[60:61], s[60:61], exec
	s_and_b64 s[64:65], s[64:65], exec
	s_mov_b64 vcc, -1
	s_or_b64 s[60:61], s[60:61], s[64:65]
	s_and_saveexec_b64 s[64:65], s[62:63]
	s_cbranch_execz .LBB6_813
; %bb.817:                              ;   in Loop: Header=BB6_814 Depth=4
	s_sleep 1
	s_trap 2
	ds_read_b64 v[4:5], v0
	s_andn2_b64 s[60:61], s[60:61], exec
	s_waitcnt lgkmcnt(0)
	v_cmp_ge_u64_e32 vcc, v[4:5], v[48:49]
	s_orn2_b64 vcc, vcc, exec
	s_branch .LBB6_813
.LBB6_818:                              ;   in Loop: Header=BB6_759 Depth=3
	s_or_b64 exec, exec, s[42:43]
	s_and_saveexec_b64 vcc, s[44:45]
	s_xor_b64 vcc, exec, vcc
	s_cbranch_execz .LBB6_820
; %bb.819:                              ;   in Loop: Header=BB6_759 Depth=3
	ds_write_b32 v0, v57
	s_trap 2
.LBB6_820:                              ;   in Loop: Header=BB6_759 Depth=3
	s_or_b64 exec, exec, s[34:35]
	;;#ASMSTART
	s_wakeup
	;;#ASMEND
.LBB6_821:                              ;   in Loop: Header=BB6_759 Depth=3
	s_or_b64 exec, exec, s[30:31]
.LBB6_822:                              ;   in Loop: Header=BB6_759 Depth=3
	s_andn2_saveexec_b64 s[28:29], s[28:29]
	s_cbranch_execz .LBB6_824
; %bb.823:                              ;   in Loop: Header=BB6_759 Depth=3
	s_waitcnt vmcnt(0) lgkmcnt(0)
	buffer_wbinvl1_vol
	s_barrier
.LBB6_824:                              ;   in Loop: Header=BB6_759 Depth=3
	s_or_b64 exec, exec, s[28:29]
.LBB6_825:                              ;   in Loop: Header=BB6_759 Depth=3
	s_or_b64 exec, exec, s[26:27]
	s_trap 2
	ds_read_b64 v[4:5], v0
	v_mov_b32_e32 v15, 0
	s_waitcnt lgkmcnt(0)
	v_readfirstlane_b32 s26, v4
	v_readfirstlane_b32 s27, v5
	s_cmp_eq_u64 s[26:27], 0
	s_cselect_b64 s[26:27], -1, 0
	s_or_b64 s[26:27], s[26:27], s[26:27]
	s_and_b64 vcc, exec, s[26:27]
	s_cbranch_vccnz .LBB6_834
; %bb.826:                              ;   in Loop: Header=BB6_759 Depth=3
	s_trap 2
	ds_read_b64 v[4:5], v0
	v_cmp_eq_u32_e32 vcc, 0, v2
	v_cndmask_b32_e32 v15, 0, v14, vcc
	v_lshlrev_b32_e32 v17, 2, v15
	s_waitcnt lgkmcnt(0)
	v_cmp_ne_u64_e32 vcc, 0, v[4:5]
	s_cbranch_vccz .LBB6_846
; %bb.827:                              ;   in Loop: Header=BB6_759 Depth=3
	s_mov_b64 s[28:29], -1
	s_and_saveexec_b64 s[26:27], s[20:21]
	s_cbranch_execz .LBB6_829
; %bb.828:                              ;   in Loop: Header=BB6_759 Depth=3
	ds_read_b32 v2, v0 offset:720
	s_waitcnt lgkmcnt(0)
	v_and_b32_e32 v2, 15, v2
	v_cmp_eq_u32_e32 vcc, 0, v2
	s_orn2_b64 s[28:29], vcc, exec
.LBB6_829:                              ;   in Loop: Header=BB6_759 Depth=3
	s_or_b64 exec, exec, s[26:27]
	s_and_saveexec_b64 s[26:27], s[24:25]
	s_cbranch_execz .LBB6_831
; %bb.830:                              ;   in Loop: Header=BB6_759 Depth=3
	ds_read_b32 v2, v0 offset:784
	s_waitcnt lgkmcnt(0)
	v_and_b32_e32 v2, 15, v2
	v_cmp_eq_u32_e32 vcc, 0, v2
	s_and_b64 vcc, s[28:29], vcc
	s_andn2_b64 s[28:29], s[28:29], exec
	s_and_b64 vcc, vcc, exec
	s_or_b64 s[28:29], s[28:29], vcc
.LBB6_831:                              ;   in Loop: Header=BB6_759 Depth=3
	s_or_b64 exec, exec, s[26:27]
	s_xor_b64 s[28:29], s[28:29], -1
	v_cndmask_b32_e64 v2, 0, 1, s[28:29]
	;;#ASMSTART
	;;#ASMEND
	s_mov_b64 s[26:27], -1
	v_cmp_ne_u32_e32 vcc, 0, v2
	v_mov_b32_e32 v10, 0
	v_mov_b32_e32 v11, v17
	;; [unrolled: 1-line block ×4, first 2 shown]
	s_cbranch_vccz .LBB6_847
; %bb.832:                              ;   in Loop: Header=BB6_759 Depth=3
	s_and_saveexec_b64 s[34:35], s[26:27]
	s_cbranch_execnz .LBB6_862
.LBB6_833:                              ;   in Loop: Header=BB6_759 Depth=3
	s_or_b64 exec, exec, s[34:35]
.LBB6_834:                              ;   in Loop: Header=BB6_759 Depth=3
	s_and_saveexec_b64 s[26:27], s[10:11]
	s_cbranch_execz .LBB6_880
.LBB6_835:                              ;   in Loop: Header=BB6_759 Depth=3
	s_and_saveexec_b64 s[28:29], s[52:53]
	s_xor_b64 s[28:29], exec, s[28:29]
	s_cbranch_execz .LBB6_910
; %bb.836:                              ;   in Loop: Header=BB6_759 Depth=3
	s_and_saveexec_b64 s[30:31], s[16:17]
	s_cbranch_execz .LBB6_909
; %bb.837:                              ;   in Loop: Header=BB6_759 Depth=3
	s_mov_b64 s[42:43], exec
	v_mbcnt_lo_u32_b32 v2, s42, 0
	v_mbcnt_hi_u32_b32 v2, s43, v2
	v_cmp_eq_u32_e32 vcc, 0, v2
	s_waitcnt vmcnt(0) lgkmcnt(0)
	buffer_wbinvl1_vol
	s_and_saveexec_b64 s[34:35], vcc
	s_cbranch_execz .LBB6_839
; %bb.838:                              ;   in Loop: Header=BB6_759 Depth=3
	s_bcnt1_i32_b64 vcc_lo, s[42:43]
	v_mov_b32_e32 v2, vcc_lo
	v_mov_b32_e32 v3, v52
	ds_add_u64 v0, v[2:3]
	s_trap 2
.LBB6_839:                              ;   in Loop: Header=BB6_759 Depth=3
	s_or_b64 exec, exec, s[34:35]
	s_trap 2
	ds_read_b64 v[2:3], v0
	v_add_co_u32_e32 v48, vcc, v48, v54
	v_addc_co_u32_e32 v49, vcc, 0, v49, vcc
	s_waitcnt lgkmcnt(0)
	v_cmp_lt_u64_e32 vcc, v[2:3], v[48:49]
	s_and_saveexec_b64 s[34:35], vcc
	s_cbranch_execz .LBB6_908
; %bb.840:                              ;   in Loop: Header=BB6_759 Depth=3
	s_mov_b32 s68, 0
	s_mov_b64 s[42:43], 0
                                        ; implicit-def: $sgpr44_sgpr45
                                        ; implicit-def: $sgpr60_sgpr61
	s_branch .LBB6_842
.LBB6_841:                              ;   in Loop: Header=BB6_842 Depth=4
	s_or_b64 exec, exec, s[64:65]
	s_and_b64 vcc, exec, vcc
	s_or_b64 s[42:43], vcc, s[42:43]
	s_andn2_b64 vcc, s[44:45], exec
	s_and_b64 s[44:45], s[60:61], exec
	s_or_b64 s[44:45], vcc, s[44:45]
	s_andn2_b64 exec, exec, s[42:43]
	s_cbranch_execz .LBB6_906
.LBB6_842:                              ;   Parent Loop BB6_47 Depth=1
                                        ;     Parent Loop BB6_756 Depth=2
                                        ;       Parent Loop BB6_759 Depth=3
                                        ; =>      This Inner Loop Header: Depth=4
	s_add_i32 s68, s68, 1
	s_cmpk_lg_i32 s68, 0x2710
	s_cselect_b64 s[62:63], -1, 0
	s_and_b64 vcc, exec, s[62:63]
                                        ; implicit-def: $sgpr64_sgpr65
	s_cbranch_vccnz .LBB6_844
; %bb.843:                              ;   in Loop: Header=BB6_842 Depth=4
	s_trap 2
	ds_read_b64 v[2:3], v0
	s_andn2_b64 s[62:63], s[62:63], exec
	s_mov_b32 s68, 0
	s_mov_b64 s[64:65], -1
	s_waitcnt lgkmcnt(0)
	flat_load_dword v2, v[2:3] glc
	s_waitcnt vmcnt(0) lgkmcnt(0)
	buffer_invl2
	buffer_wbinvl1_vol
	v_cmp_eq_u32_e32 vcc, 0, v2
	s_and_b64 vcc, vcc, exec
	s_or_b64 s[62:63], s[62:63], vcc
.LBB6_844:                              ;   in Loop: Header=BB6_842 Depth=4
	s_andn2_b64 s[60:61], s[60:61], exec
	s_and_b64 s[64:65], s[64:65], exec
	s_mov_b64 vcc, -1
	s_or_b64 s[60:61], s[60:61], s[64:65]
	s_and_saveexec_b64 s[64:65], s[62:63]
	s_cbranch_execz .LBB6_841
; %bb.845:                              ;   in Loop: Header=BB6_842 Depth=4
	s_sleep 1
	s_trap 2
	ds_read_b64 v[2:3], v0
	s_andn2_b64 s[60:61], s[60:61], exec
	s_waitcnt lgkmcnt(0)
	v_cmp_ge_u64_e32 vcc, v[2:3], v[48:49]
	s_orn2_b64 vcc, vcc, exec
	s_branch .LBB6_841
.LBB6_846:                              ;   in Loop: Header=BB6_759 Depth=3
	s_cbranch_execnz .LBB6_873
	s_branch .LBB6_834
.LBB6_847:                              ;   in Loop: Header=BB6_759 Depth=3
	v_ashrrev_i32_e32 v2, 31, v17
	v_lshrrev_b32_e32 v2, 20, v2
	v_add_u32_e32 v2, v17, v2
	v_ashrrev_i32_e32 v10, 12, v2
	v_sub_u32_e32 v13, v10, v59
	v_cmp_lt_i32_e32 vcc, 0, v13
	s_and_saveexec_b64 s[26:27], vcc
	s_cbranch_execz .LBB6_851
; %bb.848:                              ;   in Loop: Header=BB6_759 Depth=3
	s_trap 2
	ds_read_b64 v[2:3], v0
	v_mov_b32_e32 v9, v23
	ds_read_b128 v[22:25], v0
	buffer_load_dword v4, off, s[0:3], s33 offset:92 ; 4-byte Folded Reload
	buffer_load_dword v5, off, s[0:3], s33 offset:96 ; 4-byte Folded Reload
	v_mov_b32_e32 v12, v59
	v_mov_b32_e32 v11, v58
	s_mov_b64 s[28:29], 0
	s_waitcnt vmcnt(0)
	v_mov_b32_e32 v8, v4
	s_waitcnt lgkmcnt(1)
	v_add_co_u32_e32 v2, vcc, v2, v8
	v_addc_co_u32_e32 v3, vcc, v3, v9, vcc
	s_waitcnt lgkmcnt(0)
	v_add_co_u32_e32 v4, vcc, v22, v8
	v_addc_co_u32_e32 v5, vcc, v23, v9, vcc
	v_add_co_u32_e32 v8, vcc, v24, v8
	v_addc_co_u32_e32 v9, vcc, v25, v9, vcc
.LBB6_849:                              ;   Parent Loop BB6_47 Depth=1
                                        ;     Parent Loop BB6_756 Depth=2
                                        ;       Parent Loop BB6_759 Depth=3
                                        ; =>      This Inner Loop Header: Depth=4
	global_load_dwordx4 v[22:25], v[2:3], off glc slc
	global_load_dwordx4 v[38:41], v[2:3], off offset:1024 glc slc
	global_load_dwordx4 v[44:47], v[2:3], off offset:2048 glc slc
	;; [unrolled: 1-line block ×3, first 2 shown]
	v_add_co_u32_e32 v2, vcc, v2, v28
	v_addc_co_u32_e32 v3, vcc, v3, v29, vcc
	v_sub_u32_e32 v13, v13, v54
	v_cmp_gt_i32_e32 vcc, 1, v13
	s_or_b64 s[28:29], vcc, s[28:29]
	s_waitcnt vmcnt(3)
	global_store_dwordx4 v[4:5], v[22:25], off glc slc
	s_waitcnt vmcnt(3)
	global_store_dwordx4 v[4:5], v[38:41], off offset:1024 glc slc
	s_waitcnt vmcnt(3)
	global_store_dwordx4 v[4:5], v[44:47], off offset:2048 glc slc
	;; [unrolled: 2-line block ×3, first 2 shown]
	global_store_dwordx4 v[8:9], v[22:25], off glc slc
	global_store_dwordx4 v[8:9], v[38:41], off offset:1024 glc slc
	global_store_dwordx4 v[8:9], v[44:47], off offset:2048 glc slc
	;; [unrolled: 1-line block ×3, first 2 shown]
	v_add_co_u32_e32 v4, vcc, v4, v28
	v_addc_co_u32_e32 v5, vcc, v5, v29, vcc
	v_add_co_u32_e32 v8, vcc, v8, v28
	v_addc_co_u32_e32 v9, vcc, v9, v29, vcc
	s_andn2_b64 exec, exec, s[28:29]
	s_cbranch_execnz .LBB6_849
; %bb.850:                              ;   in Loop: Header=BB6_759 Depth=3
	s_or_b64 exec, exec, s[28:29]
	v_accvgpr_read_b32 v47, a13
	v_accvgpr_read_b32 v24, a28
	v_mov_b32_e32 v58, v11
	v_accvgpr_read_b32 v46, a12
	v_accvgpr_read_b32 v45, a15
	;; [unrolled: 1-line block ×3, first 2 shown]
	v_mov_b32_e32 v59, v12
	v_accvgpr_read_b32 v39, a23
	v_mov_b32_e32 v23, v7
	v_accvgpr_read_b32 v25, a29
	v_mov_b32_e32 v57, 1
.LBB6_851:                              ;   in Loop: Header=BB6_759 Depth=3
	s_or_b64 exec, exec, s[26:27]
	v_lshlrev_b32_e32 v21, 12, v10
	v_cmp_ne_u32_e32 vcc, v17, v21
	s_mov_b64 s[26:27], 0
	v_mov_b32_e32 v10, 0
                                        ; implicit-def: $vgpr11
                                        ; implicit-def: $vgpr12
                                        ; implicit-def: $vgpr2
	s_and_saveexec_b64 s[42:43], vcc
	s_cbranch_execz .LBB6_861
; %bb.852:                              ;   in Loop: Header=BB6_759 Depth=3
	v_lshlrev_b32_e32 v2, 6, v13
	v_accvgpr_read_b32 v4, a20
	v_sub_u32_e32 v2, v4, v2
	v_ashrrev_i32_e32 v4, 31, v2
	v_lshrrev_b32_e32 v4, 26, v4
	v_add_u32_e32 v4, v2, v4
	v_sub_u32_e32 v3, v17, v21
	v_ashrrev_i32_e32 v5, 6, v4
	v_and_b32_e32 v4, 0xffffffc0, v4
	v_sub_u32_e32 v22, v2, v4
	v_ashrrev_i32_e32 v4, 31, v3
	v_lshrrev_b32_e32 v4, 22, v4
	v_add_u32_e32 v4, v3, v4
	v_and_b32_e32 v23, 0xfffffc00, v4
	v_lshlrev_b32_e32 v2, 4, v22
	v_sub_u32_e32 v25, v3, v23
	v_lshl_add_u32 v2, v5, 10, v2
	v_ashrrev_i32_e32 v8, 10, v4
	v_cmp_lt_i32_e64 s[26:27], 15, v25
	v_sub_u32_e32 v26, v3, v2
	v_addc_co_u32_e64 v3, vcc, 0, v8, s[26:27]
	v_sub_u32_e32 v24, v3, v5
	v_cmp_lt_i32_e32 vcc, 15, v26
	s_and_saveexec_b64 s[44:45], vcc
	s_cbranch_execz .LBB6_858
; %bb.853:                              ;   in Loop: Header=BB6_759 Depth=3
	s_trap 2
	ds_read_b64 v[4:5], v0
	ds_read_b128 v[8:11], v0
	v_add_u32_e32 v12, v2, v21
	v_ashrrev_i32_e32 v13, 31, v12
	s_mov_b64 s[60:61], 0
	s_waitcnt lgkmcnt(0)
	v_add_co_u32_e32 v4, vcc, v4, v12
	v_addc_co_u32_e32 v5, vcc, v5, v13, vcc
	v_add_co_u32_e32 v2, vcc, v8, v12
	v_addc_co_u32_e32 v3, vcc, v9, v13, vcc
	;; [unrolled: 2-line block ×3, first 2 shown]
.LBB6_854:                              ;   Parent Loop BB6_47 Depth=1
                                        ;     Parent Loop BB6_756 Depth=2
                                        ;       Parent Loop BB6_759 Depth=3
                                        ; =>      This Loop Header: Depth=4
                                        ;           Child Loop BB6_855 Depth 5
	global_load_dwordx4 v[10:13], v[4:5], off glc slc
	s_mov_b64 s[64:65], -1
	s_mov_b64 s[62:63], 0
	s_waitcnt vmcnt(0)
.LBB6_855:                              ;   Parent Loop BB6_47 Depth=1
                                        ;     Parent Loop BB6_756 Depth=2
                                        ;       Parent Loop BB6_759 Depth=3
                                        ;         Parent Loop BB6_854 Depth=4
                                        ; =>        This Inner Loop Header: Depth=5
	s_cmp_eq_u32 s62, 0
	s_cselect_b64 s[28:29], -1, 0
	s_cmp_eq_u32 s62, 1
	s_cselect_b64 s[34:35], -1, 0
	v_cndmask_b32_e64 v27, 0, 1, s[64:65]
	v_cndmask_b32_e64 v38, v2, v8, s[34:35]
	v_cmp_ne_u32_e64 s[30:31], 1, v27
	v_cndmask_b32_e64 v39, v3, v9, s[34:35]
	v_add_co_u32_e32 v27, vcc, 0x400, v38
	global_store_dwordx4 v[38:39], v[10:13], off glc slc
	v_addc_co_u32_e32 v38, vcc, 0, v39, vcc
	s_mov_b64 s[64:65], 0
	s_mov_b64 s[62:63], 1
	v_cndmask_b32_e64 v8, v8, v27, s[34:35]
	s_and_b64 vcc, exec, s[30:31]
	v_cndmask_b32_e64 v9, v9, v38, s[34:35]
	v_cndmask_b32_e64 v3, v3, v38, s[28:29]
	;; [unrolled: 1-line block ×3, first 2 shown]
	s_cbranch_vccz .LBB6_855
; %bb.856:                              ;   in Loop: Header=BB6_854 Depth=4
	v_add_co_u32_e32 v2, vcc, v2, v40
	v_accvgpr_read_b32 v11, a21
	v_addc_co_u32_e32 v3, vcc, v3, v11, vcc
	v_add_co_u32_e32 v8, vcc, v8, v40
	v_addc_co_u32_e32 v9, vcc, v9, v11, vcc
	v_add_co_u32_e32 v4, vcc, v1, v4
	v_addc_co_u32_e32 v5, vcc, v0, v5, vcc
	v_sub_u32_e32 v26, v26, v55
	v_cmp_gt_i32_e32 vcc, 16, v26
	s_or_b64 s[60:61], vcc, s[60:61]
	v_sub_u32_e32 v24, v24, v54
	s_andn2_b64 exec, exec, s[60:61]
	s_cbranch_execnz .LBB6_854
; %bb.857:                              ;   in Loop: Header=BB6_759 Depth=3
	s_or_b64 exec, exec, s[60:61]
	v_accvgpr_read_b32 v39, a23
.LBB6_858:                              ;   in Loop: Header=BB6_759 Depth=3
	s_or_b64 exec, exec, s[44:45]
	v_and_b32_e32 v3, 12, v17
	v_cndmask_b32_e64 v11, v25, v3, s[26:27]
	s_mov_b64 s[28:29], 0
	v_mov_b32_e32 v10, 0
	v_cmp_ne_u32_e32 vcc, 0, v11
                                        ; implicit-def: $vgpr12
                                        ; implicit-def: $vgpr2
	s_mov_b64 s[30:31], exec
	s_and_b64 vcc, s[30:31], vcc
	v_accvgpr_read_b32 v26, a18
	s_mov_b64 exec, vcc
	s_cbranch_execz .LBB6_860
; %bb.859:                              ;   in Loop: Header=BB6_759 Depth=3
	v_sub_u32_e32 v2, v25, v3
	v_cndmask_b32_e64 v2, 0, v2, s[26:27]
	v_cmp_lt_i32_e32 vcc, 0, v24
	v_add3_u32 v10, v23, v21, v2
	v_cndmask_b32_e32 v2, 0, v54, vcc
	v_sub_u32_e32 v2, v2, v24
	v_lshl_add_u32 v12, v2, 6, v22
	v_ashrrev_i32_e32 v2, 31, v12
	v_lshrrev_b32_e32 v2, 26, v2
	v_add_u32_e32 v2, v12, v2
	s_mov_b64 s[28:29], exec
	v_ashrrev_i32_e32 v2, 6, v2
.LBB6_860:                              ;   in Loop: Header=BB6_759 Depth=3
	s_or_b64 exec, exec, s[30:31]
	v_accvgpr_read_b32 v24, a28
	s_and_b64 s[26:27], s[28:29], exec
	v_mov_b32_e32 v23, v7
	v_accvgpr_read_b32 v25, a29
.LBB6_861:                              ;   in Loop: Header=BB6_759 Depth=3
	s_or_b64 exec, exec, s[42:43]
	s_and_saveexec_b64 s[34:35], s[26:27]
	s_cbranch_execz .LBB6_833
.LBB6_862:                              ;   in Loop: Header=BB6_759 Depth=3
	v_ashrrev_i32_e32 v3, 31, v11
	v_lshrrev_b32_e32 v3, 21, v3
	v_add_u32_e32 v3, v11, v3
	v_ashrrev_i32_e32 v22, 11, v3
	v_sub_u32_e32 v13, v22, v2
	v_ashrrev_i32_e32 v3, 31, v12
	v_cmp_lt_i32_e32 vcc, 0, v13
	v_lshrrev_b32_e32 v21, 26, v3
	s_and_saveexec_b64 s[26:27], vcc
	s_cbranch_execz .LBB6_866
; %bb.863:                              ;   in Loop: Header=BB6_759 Depth=3
	s_trap 2
	v_add_u32_e32 v3, v12, v21
	ds_read_b64 v[8:9], v0
	ds_read_b128 v[24:27], v0
	v_and_b32_e32 v3, 0x3fffffc0, v3
	v_sub_u32_e32 v3, v12, v3
	v_lshlrev_b32_e32 v3, 2, v3
	v_lshlrev_b32_e32 v2, 11, v2
	v_add3_u32 v23, v3, v10, v2
	v_ashrrev_i32_e32 v38, 31, v23
	s_waitcnt lgkmcnt(0)
	v_add_co_u32_e32 v2, vcc, v24, v23
	v_addc_co_u32_e32 v3, vcc, v25, v38, vcc
	v_add_co_u32_e32 v4, vcc, v26, v23
	v_addc_co_u32_e32 v5, vcc, v27, v38, vcc
	;; [unrolled: 2-line block ×4, first 2 shown]
	s_mov_b64 s[28:29], 0
.LBB6_864:                              ;   Parent Loop BB6_47 Depth=1
                                        ;     Parent Loop BB6_756 Depth=2
                                        ;       Parent Loop BB6_759 Depth=3
                                        ; =>      This Inner Loop Header: Depth=4
	v_add_co_u32_e32 v24, vcc, 0xfffff900, v8
	v_addc_co_u32_e32 v25, vcc, -1, v9, vcc
	v_add_co_u32_e32 v26, vcc, 0xfffffa00, v8
	v_addc_co_u32_e32 v27, vcc, -1, v9, vcc
	flat_load_dword v38, v[24:25] glc slc
	v_add_co_u32_e32 v24, vcc, 0xfffffb00, v8
	v_addc_co_u32_e32 v25, vcc, -1, v9, vcc
	flat_load_dword v39, v[26:27] glc slc
	v_add_co_u32_e32 v26, vcc, s74, v8
	flat_load_dword v23, v[8:9] glc slc
	v_addc_co_u32_e32 v27, vcc, -1, v9, vcc
	flat_load_dword v53, v[24:25] glc slc
	v_add_co_u32_e32 v24, vcc, 0xfffffd00, v8
	v_addc_co_u32_e32 v25, vcc, -1, v9, vcc
	flat_load_dword v40, v[26:27] glc slc
	v_add_co_u32_e32 v26, vcc, 0xfffffe00, v8
	;; [unrolled: 3-line block ×3, first 2 shown]
	flat_load_dword v26, v[26:27] glc slc
	v_addc_co_u32_e32 v25, vcc, -1, v9, vcc
	flat_load_dword v24, v[24:25] glc slc
	v_sub_u32_e32 v13, v13, v54
	v_cmp_gt_i32_e32 vcc, 1, v13
	s_or_b64 s[28:29], vcc, s[28:29]
	v_add_co_u32_e32 v8, vcc, v8, v42
	v_addc_co_u32_e32 v9, vcc, v9, v31, vcc
	s_waitcnt vmcnt(0) lgkmcnt(0)
	flat_store_dword v[2:3], v23 offset:1792 glc slc
	flat_store_dword v[2:3], v38 glc slc
	flat_store_dword v[2:3], v39 offset:256 glc slc
	flat_store_dword v[2:3], v53 offset:512 glc slc
	flat_store_dword v[2:3], v40 offset:768 glc slc
	flat_store_dword v[2:3], v41 offset:1024 glc slc
	flat_store_dword v[2:3], v26 offset:1280 glc slc
	flat_store_dword v[2:3], v24 offset:1536 glc slc
	flat_store_dword v[4:5], v38 glc slc
	flat_store_dword v[4:5], v39 offset:256 glc slc
	flat_store_dword v[4:5], v53 offset:512 glc slc
	flat_store_dword v[4:5], v40 offset:768 glc slc
	flat_store_dword v[4:5], v41 offset:1024 glc slc
	flat_store_dword v[4:5], v26 offset:1280 glc slc
	flat_store_dword v[4:5], v24 offset:1536 glc slc
	flat_store_dword v[4:5], v23 offset:1792 glc slc
	v_add_co_u32_e32 v2, vcc, v2, v42
	v_addc_co_u32_e32 v3, vcc, v3, v31, vcc
	v_add_co_u32_e32 v4, vcc, v4, v42
	v_addc_co_u32_e32 v5, vcc, v5, v31, vcc
	s_andn2_b64 exec, exec, s[28:29]
	s_cbranch_execnz .LBB6_864
; %bb.865:                              ;   in Loop: Header=BB6_759 Depth=3
	s_or_b64 exec, exec, s[28:29]
	v_accvgpr_read_b32 v24, a28
	v_accvgpr_read_b32 v40, a14
	;; [unrolled: 1-line block ×4, first 2 shown]
	v_mov_b32_e32 v23, v7
	v_accvgpr_read_b32 v25, a29
.LBB6_866:                              ;   in Loop: Header=BB6_759 Depth=3
	s_or_b64 exec, exec, s[26:27]
	v_lshlrev_b32_e32 v2, 11, v22
	v_cmp_ne_u32_e32 vcc, v11, v2
	s_and_saveexec_b64 s[42:43], vcc
	s_cbranch_execz .LBB6_872
; %bb.867:                              ;   in Loop: Header=BB6_759 Depth=3
	v_add_u32_e32 v3, v12, v21
	v_and_b32_e32 v3, 0xffffffc0, v3
	v_sub_u32_e32 v3, v12, v3
	v_lshlrev_b32_e32 v4, 6, v13
	v_sub_u32_e32 v3, v3, v4
	v_ashrrev_i32_e32 v4, 31, v3
	v_lshrrev_b32_e32 v4, 26, v4
	v_add_u32_e32 v4, v3, v4
	v_and_b32_e32 v5, 0x3fffffc0, v4
	v_sub_u32_e32 v3, v3, v5
	v_lshlrev_b32_e32 v4, 2, v4
	v_and_b32_e32 v4, 0xffffff00, v4
	v_lshlrev_b32_e32 v3, 2, v3
	v_add3_u32 v2, v4, v3, v2
	v_sub_u32_e32 v11, v11, v2
	v_cmp_lt_i32_e32 vcc, 3, v11
	s_and_b64 exec, exec, vcc
	s_cbranch_execz .LBB6_872
; %bb.868:                              ;   in Loop: Header=BB6_759 Depth=3
	s_trap 2
	ds_read_b64 v[4:5], v0
	ds_read_b128 v[22:25], v0
	v_add_u32_e32 v8, v2, v10
	v_ashrrev_i32_e32 v9, 31, v8
	s_mov_b64 s[44:45], 0
	s_waitcnt lgkmcnt(0)
	v_add_co_u32_e32 v4, vcc, v4, v8
	v_addc_co_u32_e32 v5, vcc, v5, v9, vcc
	v_add_co_u32_e32 v2, vcc, v22, v8
	v_addc_co_u32_e32 v3, vcc, v23, v9, vcc
	;; [unrolled: 2-line block ×3, first 2 shown]
	v_accvgpr_read_b32 v24, a28
	v_accvgpr_read_b32 v25, a29
	v_mov_b32_e32 v23, v7
.LBB6_869:                              ;   Parent Loop BB6_47 Depth=1
                                        ;     Parent Loop BB6_756 Depth=2
                                        ;       Parent Loop BB6_759 Depth=3
                                        ; =>      This Loop Header: Depth=4
                                        ;           Child Loop BB6_870 Depth 5
	flat_load_dword v10, v[4:5] glc slc
	s_mov_b64 s[62:63], -1
	s_mov_b64 s[60:61], 0
	s_waitcnt vmcnt(0)
.LBB6_870:                              ;   Parent Loop BB6_47 Depth=1
                                        ;     Parent Loop BB6_756 Depth=2
                                        ;       Parent Loop BB6_759 Depth=3
                                        ;         Parent Loop BB6_869 Depth=4
                                        ; =>        This Inner Loop Header: Depth=5
	s_cmp_eq_u32 s60, 0
	s_cselect_b64 s[26:27], -1, 0
	s_cmp_eq_u32 s60, 1
	v_cndmask_b32_e64 v12, 0, 1, s[62:63]
	s_cselect_b64 s[30:31], -1, 0
	v_cmp_ne_u32_e64 s[28:29], 1, v12
	v_cndmask_b32_e64 v13, v3, v9, s[30:31]
	v_cndmask_b32_e64 v12, v2, v8, s[30:31]
	s_waitcnt lgkmcnt(0)
	flat_store_dword v[12:13], v10 glc slc
	v_add_co_u32_e32 v12, vcc, 0x100, v12
	v_addc_co_u32_e32 v13, vcc, 0, v13, vcc
	s_mov_b64 s[62:63], 0
	s_mov_b64 s[60:61], 1
	v_cndmask_b32_e64 v8, v8, v12, s[30:31]
	s_and_b64 vcc, exec, s[28:29]
	v_cndmask_b32_e64 v9, v9, v13, s[30:31]
	v_cndmask_b32_e64 v3, v3, v13, s[26:27]
	;; [unrolled: 1-line block ×3, first 2 shown]
	s_cbranch_vccz .LBB6_870
; %bb.871:                              ;   in Loop: Header=BB6_869 Depth=4
	v_add_co_u32_e32 v2, vcc, v2, v26
	v_addc_co_u32_e32 v3, vcc, v3, v39, vcc
	v_add_co_u32_e32 v8, vcc, v8, v26
	v_addc_co_u32_e32 v9, vcc, v9, v39, vcc
	v_sub_u32_e32 v11, v11, v60
	v_cmp_gt_i32_e32 vcc, 4, v11
	s_or_b64 s[44:45], vcc, s[44:45]
	v_add_co_u32_e32 v4, vcc, v43, v4
	v_addc_co_u32_e32 v5, vcc, v61, v5, vcc
	s_andn2_b64 exec, exec, s[44:45]
	s_cbranch_execnz .LBB6_869
.LBB6_872:                              ;   in Loop: Header=BB6_759 Depth=3
	s_or_b64 exec, exec, s[42:43]
	s_or_b64 exec, exec, s[34:35]
	s_branch .LBB6_834
.LBB6_873:                              ;   in Loop: Header=BB6_759 Depth=3
	s_mov_b64 s[26:27], -1
	s_and_saveexec_b64 s[28:29], s[20:21]
	s_cbranch_execz .LBB6_875
; %bb.874:                              ;   in Loop: Header=BB6_759 Depth=3
	ds_read_b32 v2, v0 offset:720
	s_waitcnt lgkmcnt(0)
	v_and_b32_e32 v2, 15, v2
	v_cmp_eq_u32_e32 vcc, 0, v2
	s_orn2_b64 s[26:27], vcc, exec
.LBB6_875:                              ;   in Loop: Header=BB6_759 Depth=3
	s_or_b64 exec, exec, s[28:29]
	s_and_saveexec_b64 s[28:29], s[18:19]
	s_cbranch_execz .LBB6_877
; %bb.876:                              ;   in Loop: Header=BB6_759 Depth=3
	ds_read_b32 v2, v0 offset:784
	s_waitcnt lgkmcnt(0)
	v_and_b32_e32 v2, 15, v2
	v_cmp_eq_u32_e32 vcc, 0, v2
	s_and_b64 vcc, s[26:27], vcc
	s_andn2_b64 s[26:27], s[26:27], exec
	s_and_b64 vcc, vcc, exec
	s_or_b64 s[26:27], s[26:27], vcc
.LBB6_877:                              ;   in Loop: Header=BB6_759 Depth=3
	s_or_b64 exec, exec, s[28:29]
	s_xor_b64 s[26:27], s[26:27], -1
	v_cndmask_b32_e64 v2, 0, 1, s[26:27]
	s_mov_b64 s[30:31], -1
	;;#ASMSTART
	;;#ASMEND
	v_cmp_ne_u32_e32 vcc, 0, v2
	v_mov_b32_e32 v10, 0
	s_cbranch_vccz .LBB6_884
; %bb.878:                              ;   in Loop: Header=BB6_759 Depth=3
	v_mov_b32_e32 v11, v58
	v_mov_b32_e32 v4, v59
	s_and_saveexec_b64 s[26:27], s[30:31]
	s_cbranch_execnz .LBB6_897
.LBB6_879:                              ;   in Loop: Header=BB6_759 Depth=3
	s_or_b64 exec, exec, s[26:27]
	s_and_saveexec_b64 s[26:27], s[10:11]
	s_cbranch_execnz .LBB6_835
.LBB6_880:                              ;   in Loop: Header=BB6_759 Depth=3
	s_or_b64 exec, exec, s[26:27]
                                        ; implicit-def: $vgpr2
	s_and_saveexec_b64 s[26:27], s[22:23]
	s_xor_b64 s[28:29], exec, s[26:27]
	s_cbranch_execz .LBB6_913
.LBB6_881:                              ;   in Loop: Header=BB6_759 Depth=3
	v_and_b32_e32 v3, 16, v62
	v_cmp_lt_i32_e32 vcc, 0, v15
	v_cmp_ne_u32_e64 s[26:27], 0, v3
	v_and_b32_e32 v2, 16, v62
	s_and_b64 vcc, s[26:27], vcc
	s_and_saveexec_b64 s[26:27], vcc
	s_cbranch_execz .LBB6_883
; %bb.882:                              ;   in Loop: Header=BB6_759 Depth=3
	v_mov_b32_e32 v2, 1
	s_waitcnt vmcnt(0) lgkmcnt(0)
	buffer_wbinvl1_vol
.LBB6_883:                              ;   in Loop: Header=BB6_759 Depth=3
	s_or_b64 exec, exec, s[26:27]
	s_andn2_saveexec_b64 s[26:27], s[28:29]
	s_cbranch_execz .LBB6_932
	s_branch .LBB6_914
.LBB6_884:                              ;   in Loop: Header=BB6_759 Depth=3
	v_ashrrev_i32_e32 v2, 31, v17
	v_lshrrev_b32_e32 v2, 20, v2
	v_add_u32_e32 v2, v17, v2
	v_ashrrev_i32_e32 v8, 12, v2
	v_sub_u32_e32 v9, v8, v59
	v_cmp_lt_i32_e32 vcc, 0, v9
	s_and_saveexec_b64 s[26:27], vcc
	s_cbranch_execz .LBB6_888
; %bb.885:                              ;   in Loop: Header=BB6_759 Depth=3
	s_trap 2
	ds_read_b64 v[2:3], v0
	buffer_load_dword v56, off, s[0:3], s33 offset:92 ; 4-byte Folded Reload
	buffer_load_dword v57, off, s[0:3], s33 offset:96 ; 4-byte Folded Reload
	s_mov_b64 s[28:29], 0
	s_waitcnt lgkmcnt(0)
	v_pk_mov_b32 v[4:5], v[2:3], v[2:3] op_sel:[0,1]
.LBB6_886:                              ;   Parent Loop BB6_47 Depth=1
                                        ;     Parent Loop BB6_756 Depth=2
                                        ;       Parent Loop BB6_759 Depth=3
                                        ; =>      This Inner Loop Header: Depth=4
	s_waitcnt vmcnt(0)
	v_add_co_u32_e32 v26, vcc, v56, v4
	v_addc_co_u32_e32 v27, vcc, v23, v5, vcc
	global_load_dwordx4 v[10:13], v[26:27], off glc slc
	global_load_dwordx4 v[22:25], v[26:27], off offset:1024 glc slc
	global_load_dwordx4 v[38:41], v[26:27], off offset:2048 glc slc
	;; [unrolled: 1-line block ×3, first 2 shown]
	v_add_co_u32_e32 v26, vcc, v56, v2
	v_addc_co_u32_e32 v27, vcc, v7, v3, vcc
	v_add_co_u32_e32 v4, vcc, v4, v28
	v_addc_co_u32_e32 v5, vcc, v5, v29, vcc
	v_add_co_u32_e32 v2, vcc, v2, v28
	v_sub_u32_e32 v9, v9, v54
	v_addc_co_u32_e32 v3, vcc, v3, v29, vcc
	v_cmp_gt_i32_e32 vcc, 1, v9
	s_or_b64 s[28:29], vcc, s[28:29]
	s_waitcnt vmcnt(3)
	global_store_dwordx4 v[26:27], v[10:13], off glc slc
	s_waitcnt vmcnt(3)
	global_store_dwordx4 v[26:27], v[22:25], off offset:1024 glc slc
	s_nop 0
	v_mov_b32_e32 v23, v7
	s_waitcnt vmcnt(3)
	global_store_dwordx4 v[26:27], v[38:41], off offset:2048 glc slc
	s_waitcnt vmcnt(3)
	global_store_dwordx4 v[26:27], v[44:47], off offset:3072 glc slc
	s_andn2_b64 exec, exec, s[28:29]
	s_cbranch_execnz .LBB6_886
; %bb.887:                              ;   in Loop: Header=BB6_759 Depth=3
	s_or_b64 exec, exec, s[28:29]
	v_accvgpr_read_b32 v47, a13
	v_accvgpr_read_b32 v24, a28
	;; [unrolled: 1-line block ×8, first 2 shown]
	v_mov_b32_e32 v57, 1
.LBB6_888:                              ;   in Loop: Header=BB6_759 Depth=3
	s_or_b64 exec, exec, s[26:27]
	v_lshlrev_b32_e32 v8, 12, v8
	v_cmp_ne_u32_e32 vcc, v17, v8
	s_mov_b64 s[30:31], 0
	v_mov_b32_e32 v10, 0
                                        ; implicit-def: $vgpr11
                                        ; implicit-def: $vgpr4
	s_and_saveexec_b64 s[28:29], vcc
	s_cbranch_execz .LBB6_896
; %bb.889:                              ;   in Loop: Header=BB6_759 Depth=3
	v_lshlrev_b32_e32 v3, 6, v9
	v_accvgpr_read_b32 v4, a20
	v_sub_u32_e32 v3, v4, v3
	v_ashrrev_i32_e32 v4, 31, v3
	v_lshrrev_b32_e32 v4, 26, v4
	v_add_u32_e32 v4, v3, v4
	v_ashrrev_i32_e32 v5, 6, v4
	v_and_b32_e32 v4, 0xffffffc0, v4
	v_sub_u32_e32 v9, v3, v4
	v_sub_u32_e32 v2, v17, v8
	v_lshlrev_b32_e32 v3, 4, v9
	v_lshl_add_u32 v4, v5, 10, v3
	v_ashrrev_i32_e32 v3, 31, v2
	v_lshrrev_b32_e32 v3, 22, v3
	v_add_u32_e32 v3, v2, v3
	v_and_b32_e32 v12, 0xfffffc00, v3
	v_sub_u32_e32 v21, v2, v12
	v_ashrrev_i32_e32 v11, 10, v3
	v_cmp_lt_i32_e32 vcc, 15, v21
	v_sub_u32_e32 v10, v2, v4
	v_addc_co_u32_e64 v2, s[26:27], 0, v11, vcc
	v_sub_u32_e32 v13, v2, v5
	v_cmp_lt_i32_e64 s[26:27], 15, v10
	s_and_saveexec_b64 s[30:31], s[26:27]
	s_cbranch_execz .LBB6_893
; %bb.890:                              ;   in Loop: Header=BB6_759 Depth=3
	s_trap 2
	ds_read_b64 v[2:3], v0
	v_add_u32_e32 v4, v4, v8
	v_ashrrev_i32_e32 v5, 31, v4
	s_mov_b64 s[34:35], 0
.LBB6_891:                              ;   Parent Loop BB6_47 Depth=1
                                        ;     Parent Loop BB6_756 Depth=2
                                        ;       Parent Loop BB6_759 Depth=3
                                        ; =>      This Inner Loop Header: Depth=4
	s_waitcnt lgkmcnt(0)
	v_add_co_u32_e64 v26, s[26:27], v2, v4
	v_addc_co_u32_e64 v27, s[26:27], v3, v5, s[26:27]
	global_load_dwordx4 v[22:25], v[26:27], off glc slc
	v_add_co_u32_e64 v4, s[26:27], v4, v1
	v_sub_u32_e32 v10, v10, v55
	v_addc_co_u32_e64 v5, s[26:27], v5, v0, s[26:27]
	v_cmp_gt_i32_e64 s[26:27], 16, v10
	v_sub_u32_e32 v13, v13, v54
	s_or_b64 s[34:35], s[26:27], s[34:35]
	s_waitcnt vmcnt(0)
	global_store_dwordx4 v[26:27], v[22:25], off glc slc
	s_andn2_b64 exec, exec, s[34:35]
	s_cbranch_execnz .LBB6_891
; %bb.892:                              ;   in Loop: Header=BB6_759 Depth=3
	s_or_b64 exec, exec, s[34:35]
	v_accvgpr_read_b32 v24, a28
	v_accvgpr_read_b32 v26, a18
	v_mov_b32_e32 v23, v7
	v_accvgpr_read_b32 v25, a29
.LBB6_893:                              ;   in Loop: Header=BB6_759 Depth=3
	s_or_b64 exec, exec, s[30:31]
	v_and_b32_e32 v2, 12, v17
	v_cndmask_b32_e32 v17, v21, v2, vcc
	v_cmp_ne_u32_e64 s[26:27], 0, v17
	s_mov_b64 s[30:31], 0
	v_mov_b32_e32 v10, 0
                                        ; implicit-def: $vgpr11
                                        ; implicit-def: $vgpr4
	s_and_saveexec_b64 s[34:35], s[26:27]
	s_cbranch_execz .LBB6_895
; %bb.894:                              ;   in Loop: Header=BB6_759 Depth=3
	v_sub_u32_e32 v2, v21, v2
	v_cndmask_b32_e32 v2, 0, v2, vcc
	v_cmp_lt_i32_e32 vcc, 0, v13
	v_add3_u32 v10, v12, v8, v2
	v_cndmask_b32_e32 v2, 0, v54, vcc
	v_sub_u32_e32 v2, v2, v13
	v_lshl_add_u32 v11, v2, 6, v9
	v_ashrrev_i32_e32 v2, 31, v11
	v_lshrrev_b32_e32 v2, 26, v2
	v_add_u32_e32 v2, v11, v2
	s_mov_b64 s[30:31], exec
	v_ashrrev_i32_e32 v4, 6, v2
.LBB6_895:                              ;   in Loop: Header=BB6_759 Depth=3
	s_or_b64 exec, exec, s[34:35]
	s_and_b64 s[30:31], s[30:31], exec
.LBB6_896:                              ;   in Loop: Header=BB6_759 Depth=3
	s_or_b64 exec, exec, s[28:29]
	s_and_saveexec_b64 s[26:27], s[30:31]
	s_cbranch_execz .LBB6_879
.LBB6_897:                              ;   in Loop: Header=BB6_759 Depth=3
	v_ashrrev_i32_e32 v2, 31, v17
	v_lshrrev_b32_e32 v2, 21, v2
	v_add_u32_e32 v2, v17, v2
	v_ashrrev_i32_e32 v13, 11, v2
	v_sub_u32_e32 v12, v13, v4
	v_cmp_lt_i32_e32 vcc, 0, v12
	s_and_saveexec_b64 s[28:29], vcc
	s_cbranch_execz .LBB6_901
; %bb.898:                              ;   in Loop: Header=BB6_759 Depth=3
	v_ashrrev_i32_e32 v5, 31, v11
	v_lshrrev_b32_e32 v5, 26, v5
	s_trap 2
	ds_read_b64 v[2:3], v0
	v_add_u32_e32 v5, v11, v5
	v_and_b32_e32 v5, 0x3fffffc0, v5
	v_sub_u32_e32 v5, v11, v5
	v_lshlrev_b32_e32 v5, 2, v5
	v_lshlrev_b32_e32 v4, 11, v4
	v_add3_u32 v4, v5, v10, v4
	v_ashrrev_i32_e32 v5, 31, v4
	s_mov_b64 s[30:31], 0
	s_waitcnt lgkmcnt(0)
	v_pk_mov_b32 v[8:9], v[2:3], v[2:3] op_sel:[0,1]
.LBB6_899:                              ;   Parent Loop BB6_47 Depth=1
                                        ;     Parent Loop BB6_756 Depth=2
                                        ;       Parent Loop BB6_759 Depth=3
                                        ; =>      This Inner Loop Header: Depth=4
	v_add_co_u32_e32 v22, vcc, v4, v8
	v_addc_co_u32_e32 v23, vcc, v5, v9, vcc
	flat_load_dword v21, v[22:23] glc slc
	flat_load_dword v24, v[22:23] offset:256 glc slc
	flat_load_dword v25, v[22:23] offset:512 glc slc
	;; [unrolled: 1-line block ×7, first 2 shown]
	v_add_co_u32_e32 v22, vcc, v4, v2
	v_addc_co_u32_e32 v23, vcc, v5, v3, vcc
	v_add_co_u32_e32 v8, vcc, v8, v42
	v_addc_co_u32_e32 v9, vcc, v9, v31, vcc
	v_add_co_u32_e32 v2, vcc, v2, v42
	v_sub_u32_e32 v12, v12, v54
	v_addc_co_u32_e32 v3, vcc, v3, v31, vcc
	v_cmp_gt_i32_e32 vcc, 1, v12
	s_or_b64 s[30:31], vcc, s[30:31]
	s_waitcnt vmcnt(0) lgkmcnt(0)
	flat_store_dword v[22:23], v21 glc slc
	flat_store_dword v[22:23], v24 offset:256 glc slc
	flat_store_dword v[22:23], v25 offset:512 glc slc
	;; [unrolled: 1-line block ×7, first 2 shown]
	s_andn2_b64 exec, exec, s[30:31]
	s_cbranch_execnz .LBB6_899
; %bb.900:                              ;   in Loop: Header=BB6_759 Depth=3
	s_or_b64 exec, exec, s[30:31]
	v_accvgpr_read_b32 v24, a28
	v_accvgpr_read_b32 v26, a18
	;; [unrolled: 1-line block ×3, first 2 shown]
	v_mov_b32_e32 v23, v7
	v_accvgpr_read_b32 v25, a29
.LBB6_901:                              ;   in Loop: Header=BB6_759 Depth=3
	s_or_b64 exec, exec, s[28:29]
	v_lshlrev_b32_e32 v2, 11, v13
	v_cmp_ne_u32_e32 vcc, v17, v2
	s_and_saveexec_b64 s[28:29], vcc
	s_cbranch_execz .LBB6_905
; %bb.902:                              ;   in Loop: Header=BB6_759 Depth=3
	v_ashrrev_i32_e32 v3, 31, v11
	v_lshrrev_b32_e32 v3, 26, v3
	v_add_u32_e32 v3, v11, v3
	v_and_b32_e32 v3, 0xffffffc0, v3
	v_sub_u32_e32 v3, v11, v3
	v_lshlrev_b32_e32 v4, 6, v12
	v_sub_u32_e32 v3, v3, v4
	v_ashrrev_i32_e32 v4, 31, v3
	v_lshrrev_b32_e32 v4, 26, v4
	v_add_u32_e32 v4, v3, v4
	v_and_b32_e32 v5, 0x3fffffc0, v4
	v_sub_u32_e32 v3, v3, v5
	v_lshlrev_b32_e32 v4, 2, v4
	v_and_b32_e32 v4, 0xffffff00, v4
	v_lshlrev_b32_e32 v3, 2, v3
	v_add3_u32 v4, v4, v3, v2
	v_sub_u32_e32 v8, v17, v4
	v_cmp_lt_i32_e32 vcc, 3, v8
	s_and_b64 exec, exec, vcc
	s_cbranch_execz .LBB6_905
; %bb.903:                              ;   in Loop: Header=BB6_759 Depth=3
	s_trap 2
	ds_read_b64 v[2:3], v0
	v_add_u32_e32 v4, v4, v10
	v_ashrrev_i32_e32 v5, 31, v4
	s_mov_b64 s[30:31], 0
.LBB6_904:                              ;   Parent Loop BB6_47 Depth=1
                                        ;     Parent Loop BB6_756 Depth=2
                                        ;       Parent Loop BB6_759 Depth=3
                                        ; =>      This Inner Loop Header: Depth=4
	s_waitcnt lgkmcnt(0)
	v_add_co_u32_e32 v10, vcc, v2, v4
	v_addc_co_u32_e32 v11, vcc, v3, v5, vcc
	flat_load_dword v9, v[10:11] glc slc
	v_add_co_u32_e32 v4, vcc, v4, v43
	v_sub_u32_e32 v8, v8, v60
	v_addc_co_u32_e32 v5, vcc, v5, v61, vcc
	v_cmp_gt_i32_e32 vcc, 4, v8
	s_or_b64 s[30:31], vcc, s[30:31]
	s_waitcnt vmcnt(0) lgkmcnt(0)
	flat_store_dword v[10:11], v9 glc slc
	s_andn2_b64 exec, exec, s[30:31]
	s_cbranch_execnz .LBB6_904
.LBB6_905:                              ;   in Loop: Header=BB6_759 Depth=3
	s_or_b64 exec, exec, s[28:29]
	s_or_b64 exec, exec, s[26:27]
	s_and_saveexec_b64 s[26:27], s[10:11]
	s_cbranch_execnz .LBB6_835
	s_branch .LBB6_880
.LBB6_906:                              ;   in Loop: Header=BB6_759 Depth=3
	s_or_b64 exec, exec, s[42:43]
	s_and_saveexec_b64 vcc, s[44:45]
	s_xor_b64 vcc, exec, vcc
	s_cbranch_execz .LBB6_908
; %bb.907:                              ;   in Loop: Header=BB6_759 Depth=3
	ds_write_b32 v0, v57
	s_trap 2
.LBB6_908:                              ;   in Loop: Header=BB6_759 Depth=3
	s_or_b64 exec, exec, s[34:35]
	;;#ASMSTART
	s_wakeup
	;;#ASMEND
.LBB6_909:                              ;   in Loop: Header=BB6_759 Depth=3
	s_or_b64 exec, exec, s[30:31]
.LBB6_910:                              ;   in Loop: Header=BB6_759 Depth=3
	s_andn2_saveexec_b64 s[28:29], s[28:29]
	s_cbranch_execz .LBB6_912
; %bb.911:                              ;   in Loop: Header=BB6_759 Depth=3
	s_waitcnt vmcnt(0) lgkmcnt(0)
	buffer_wbinvl1_vol
	s_barrier
.LBB6_912:                              ;   in Loop: Header=BB6_759 Depth=3
	s_or_b64 exec, exec, s[28:29]
	s_or_b64 exec, exec, s[26:27]
                                        ; implicit-def: $vgpr2
	s_and_saveexec_b64 s[26:27], s[22:23]
	s_xor_b64 s[28:29], exec, s[26:27]
	s_cbranch_execnz .LBB6_881
.LBB6_913:                              ;   in Loop: Header=BB6_759 Depth=3
	s_andn2_saveexec_b64 s[26:27], s[28:29]
	s_cbranch_execz .LBB6_932
.LBB6_914:                              ;   in Loop: Header=BB6_759 Depth=3
	s_and_saveexec_b64 s[28:29], s[52:53]
	s_xor_b64 s[28:29], exec, s[28:29]
	s_cbranch_execz .LBB6_929
; %bb.915:                              ;   in Loop: Header=BB6_759 Depth=3
	s_and_saveexec_b64 s[30:31], s[16:17]
	s_cbranch_execz .LBB6_928
; %bb.916:                              ;   in Loop: Header=BB6_759 Depth=3
	s_mov_b64 s[42:43], exec
	v_mbcnt_lo_u32_b32 v2, s42, 0
	v_mbcnt_hi_u32_b32 v2, s43, v2
	v_cmp_eq_u32_e32 vcc, 0, v2
	;;#ASMSTART
	s_waitcnt lgkmcnt(0) vmcnt(0)
	;;#ASMEND
	s_and_saveexec_b64 s[34:35], vcc
	s_cbranch_execz .LBB6_918
; %bb.917:                              ;   in Loop: Header=BB6_759 Depth=3
	s_bcnt1_i32_b64 vcc_lo, s[42:43]
	v_mov_b32_e32 v2, vcc_lo
	v_mov_b32_e32 v3, v52
	ds_add_u64 v0, v[2:3]
	s_trap 2
.LBB6_918:                              ;   in Loop: Header=BB6_759 Depth=3
	s_or_b64 exec, exec, s[34:35]
	s_trap 2
	ds_read_b64 v[2:3], v0
	v_add_co_u32_e32 v48, vcc, v48, v54
	v_addc_co_u32_e32 v49, vcc, 0, v49, vcc
	s_waitcnt lgkmcnt(0)
	v_cmp_lt_u64_e32 vcc, v[2:3], v[48:49]
	s_and_saveexec_b64 s[34:35], vcc
	s_cbranch_execz .LBB6_927
; %bb.919:                              ;   in Loop: Header=BB6_759 Depth=3
	s_mov_b32 s68, 0
	s_mov_b64 s[42:43], 0
                                        ; implicit-def: $sgpr44_sgpr45
                                        ; implicit-def: $sgpr60_sgpr61
	s_branch .LBB6_921
.LBB6_920:                              ;   in Loop: Header=BB6_921 Depth=4
	s_or_b64 exec, exec, s[64:65]
	s_and_b64 vcc, exec, vcc
	s_or_b64 s[42:43], vcc, s[42:43]
	s_andn2_b64 vcc, s[44:45], exec
	s_and_b64 s[44:45], s[60:61], exec
	s_or_b64 s[44:45], vcc, s[44:45]
	s_andn2_b64 exec, exec, s[42:43]
	s_cbranch_execz .LBB6_925
.LBB6_921:                              ;   Parent Loop BB6_47 Depth=1
                                        ;     Parent Loop BB6_756 Depth=2
                                        ;       Parent Loop BB6_759 Depth=3
                                        ; =>      This Inner Loop Header: Depth=4
	s_add_i32 s68, s68, 1
	s_cmpk_lg_i32 s68, 0x2710
	s_cselect_b64 s[62:63], -1, 0
	s_and_b64 vcc, exec, s[62:63]
                                        ; implicit-def: $sgpr64_sgpr65
	s_cbranch_vccnz .LBB6_923
; %bb.922:                              ;   in Loop: Header=BB6_921 Depth=4
	s_trap 2
	ds_read_b64 v[2:3], v0
	s_andn2_b64 s[62:63], s[62:63], exec
	s_mov_b32 s68, 0
	s_mov_b64 s[64:65], -1
	s_waitcnt vmcnt(0) lgkmcnt(0)
	flat_load_dword v2, v[2:3] glc
	s_waitcnt vmcnt(0) lgkmcnt(0)
	buffer_invl2
	buffer_wbinvl1_vol
	v_cmp_eq_u32_e32 vcc, 0, v2
	s_and_b64 vcc, vcc, exec
	s_or_b64 s[62:63], s[62:63], vcc
.LBB6_923:                              ;   in Loop: Header=BB6_921 Depth=4
	s_andn2_b64 s[60:61], s[60:61], exec
	s_and_b64 s[64:65], s[64:65], exec
	s_mov_b64 vcc, -1
	s_or_b64 s[60:61], s[60:61], s[64:65]
	s_and_saveexec_b64 s[64:65], s[62:63]
	s_cbranch_execz .LBB6_920
; %bb.924:                              ;   in Loop: Header=BB6_921 Depth=4
	s_sleep 1
	s_trap 2
	ds_read_b64 v[2:3], v0
	s_andn2_b64 s[60:61], s[60:61], exec
	s_waitcnt lgkmcnt(0)
	v_cmp_ge_u64_e32 vcc, v[2:3], v[48:49]
	s_orn2_b64 vcc, vcc, exec
	s_branch .LBB6_920
.LBB6_925:                              ;   in Loop: Header=BB6_759 Depth=3
	s_or_b64 exec, exec, s[42:43]
	s_and_saveexec_b64 vcc, s[44:45]
	s_xor_b64 vcc, exec, vcc
	s_cbranch_execz .LBB6_927
; %bb.926:                              ;   in Loop: Header=BB6_759 Depth=3
	ds_write_b32 v0, v57
	s_trap 2
.LBB6_927:                              ;   in Loop: Header=BB6_759 Depth=3
	s_or_b64 exec, exec, s[34:35]
	;;#ASMSTART
	s_wakeup
	;;#ASMEND
.LBB6_928:                              ;   in Loop: Header=BB6_759 Depth=3
	s_or_b64 exec, exec, s[30:31]
.LBB6_929:                              ;   in Loop: Header=BB6_759 Depth=3
	s_andn2_saveexec_b64 s[28:29], s[28:29]
	s_cbranch_execz .LBB6_931
; %bb.930:                              ;   in Loop: Header=BB6_759 Depth=3
	;;#ASMSTART
	s_waitcnt lgkmcnt(0) vmcnt(0)
	;;#ASMEND
	s_barrier
.LBB6_931:                              ;   in Loop: Header=BB6_759 Depth=3
	s_or_b64 exec, exec, s[28:29]
	v_and_b32_e32 v2, 16, v62
.LBB6_932:                              ;   in Loop: Header=BB6_759 Depth=3
	s_or_b64 exec, exec, s[26:27]
	v_cmp_ne_u32_e32 vcc, 0, v2
	s_xor_b64 s[26:27], s[12:13], -1
	s_and_b64 s[28:29], vcc, s[26:27]
	s_and_saveexec_b64 s[26:27], s[28:29]
	s_cbranch_execz .LBB6_934
; %bb.933:                              ;   in Loop: Header=BB6_759 Depth=3
	flat_store_dword v[46:47], v57
.LBB6_934:                              ;   in Loop: Header=BB6_759 Depth=3
	s_or_b64 exec, exec, s[26:27]
	v_and_b32_e32 v2, 48, v62
	v_cmp_ne_u32_e32 vcc, 0, v2
	s_and_saveexec_b64 s[26:27], vcc
	s_cbranch_execz .LBB6_758
; %bb.935:                              ;   in Loop: Header=BB6_759 Depth=3
	v_add_co_u32_e32 v32, vcc, 2, v32
	v_addc_co_u32_e32 v33, vcc, 0, v33, vcc
	flat_store_dwordx2 v[34:35], v[32:33]
	s_branch .LBB6_758
.LBB6_936:                              ;   in Loop: Header=BB6_756 Depth=2
	s_or_b64 exec, exec, s[38:39]
	v_accvgpr_read_b32 v19, a17
	v_accvgpr_read_b32 v18, a16
.LBB6_937:                              ;   in Loop: Header=BB6_756 Depth=2
	s_or_b64 exec, exec, s[36:37]
	v_cmp_gt_i32_e32 vcc, 2, v4
	s_and_saveexec_b64 s[28:29], vcc
	s_cbranch_execz .LBB6_1013
; %bb.938:                              ;   in Loop: Header=BB6_756 Depth=2
	v_cmp_eq_u32_e64 s[26:27], 0, v4
	s_mov_b64 s[30:31], 0
	s_branch .LBB6_940
.LBB6_939:                              ;   in Loop: Header=BB6_940 Depth=3
	s_or_b64 exec, exec, s[26:27]
	v_add_u32_e32 v16, v14, v16
	s_mov_b64 s[26:27], 0
	s_andn2_b64 exec, exec, s[30:31]
	s_cbranch_execz .LBB6_1012
.LBB6_940:                              ;   Parent Loop BB6_47 Depth=1
                                        ;     Parent Loop BB6_756 Depth=2
                                        ; =>    This Loop Header: Depth=3
                                        ;         Child Loop BB6_946 Depth 4
                                        ;         Child Loop BB6_978 Depth 4
	;; [unrolled: 1-line block ×3, first 2 shown]
	v_and_b32_e32 v2, 12, v62
	s_mov_b64 s[36:37], -1
	v_cmp_ne_u32_e32 vcc, 0, v2
	s_and_saveexec_b64 s[34:35], vcc
	s_cbranch_execz .LBB6_952
; %bb.941:                              ;   in Loop: Header=BB6_940 Depth=3
	v_and_b32_e32 v2, 8, v62
	v_add_co_u32_e32 v8, vcc, v50, v2
	v_addc_co_u32_e32 v9, vcc, 0, v51, vcc
	v_add_co_u32_e32 v4, vcc, 2, v32
	v_addc_co_u32_e32 v5, vcc, 0, v33, vcc
	v_cmp_lt_u64_e32 vcc, v[8:9], v[4:5]
	v_mov_b32_e32 v3, 1
	s_and_saveexec_b64 s[36:37], vcc
	s_cbranch_execz .LBB6_951
; %bb.942:                              ;   in Loop: Header=BB6_940 Depth=3
	s_mov_b64 s[38:39], 0
	v_mov_b32_e32 v3, 0
                                        ; implicit-def: $sgpr40_sgpr41
	s_branch .LBB6_946
.LBB6_943:                              ;   in Loop: Header=BB6_946 Depth=4
	s_or_b64 exec, exec, s[62:63]
	v_mov_b32_e32 v8, 0
	s_orn2_b64 s[60:61], s[60:61], exec
.LBB6_944:                              ;   in Loop: Header=BB6_946 Depth=4
	s_or_b64 exec, exec, s[44:45]
	s_andn2_b64 vcc, s[40:41], exec
	s_and_b64 s[40:41], s[60:61], exec
	s_or_b64 s[40:41], vcc, s[40:41]
	v_mov_b32_e32 v3, v8
.LBB6_945:                              ;   in Loop: Header=BB6_946 Depth=4
	s_or_b64 exec, exec, s[42:43]
	s_waitcnt vmcnt(0) lgkmcnt(0)
	v_add_co_u32_e32 v8, vcc, v50, v2
	v_addc_co_u32_e32 v9, vcc, 0, v51, vcc
	v_cmp_ge_u64_e32 vcc, v[8:9], v[4:5]
	s_xor_b64 s[42:43], s[40:41], -1
	s_or_b64 vcc, s[42:43], vcc
	s_and_b64 vcc, exec, vcc
	s_or_b64 s[38:39], vcc, s[38:39]
	s_andn2_b64 exec, exec, s[38:39]
	s_cbranch_execz .LBB6_950
.LBB6_946:                              ;   Parent Loop BB6_47 Depth=1
                                        ;     Parent Loop BB6_756 Depth=2
                                        ;       Parent Loop BB6_940 Depth=3
                                        ; =>      This Inner Loop Header: Depth=4
	s_sleep 1
	flat_load_dwordx2 v[50:51], v[34:35] glc
	v_and_b32_e32 v8, 64, v62
	v_cmp_eq_u32_e32 vcc, 0, v8
	s_andn2_b64 s[40:41], s[40:41], exec
	s_and_saveexec_b64 s[42:43], vcc
	s_cbranch_execz .LBB6_945
; %bb.947:                              ;   in Loop: Header=BB6_946 Depth=4
	v_add_u32_e32 v8, 1, v3
	v_cmp_lt_i32_e32 vcc, s85, v3
	s_mov_b64 s[60:61], -1
	s_and_saveexec_b64 s[44:45], vcc
	s_cbranch_execz .LBB6_944
; %bb.948:                              ;   in Loop: Header=BB6_946 Depth=4
	s_trap 2
	ds_read_b64 v[8:9], v0
	s_waitcnt vmcnt(0) lgkmcnt(0)
	flat_load_dword v3, v[8:9] glc
	s_waitcnt vmcnt(0) lgkmcnt(0)
	buffer_invl2
	buffer_wbinvl1_vol
	v_cmp_ne_u32_e32 vcc, 0, v3
	s_and_saveexec_b64 s[62:63], vcc
	s_cbranch_execz .LBB6_943
; %bb.949:                              ;   in Loop: Header=BB6_946 Depth=4
	v_or_b32_e32 v62, 64, v62
	s_xor_b64 s[60:61], exec, -1
	ds_write_b32 v0, v3
	s_trap 2
	s_branch .LBB6_943
.LBB6_950:                              ;   in Loop: Header=BB6_940 Depth=3
	s_or_b64 exec, exec, s[38:39]
	v_and_b32_e32 v3, 12, v62
.LBB6_951:                              ;   in Loop: Header=BB6_940 Depth=3
	s_or_b64 exec, exec, s[36:37]
	v_cmp_eq_u32_e32 vcc, 0, v3
	s_orn2_b64 s[36:37], vcc, exec
	;;#ASMSTART
	s_wakeup
	;;#ASMEND
.LBB6_952:                              ;   in Loop: Header=BB6_940 Depth=3
	s_or_b64 exec, exec, s[34:35]
	s_xor_b64 s[26:27], s[26:27], -1
	s_and_b64 s[26:27], exec, s[26:27]
	s_or_b64 s[30:31], s[26:27], s[30:31]
	v_sub_u32_e32 v2, v20, v16
	s_xor_b64 s[26:27], s[36:37], -1
	v_min_i32_e32 v14, v14, v2
	s_and_saveexec_b64 s[34:35], s[26:27]
	s_cbranch_execz .LBB6_970
; %bb.953:                              ;   in Loop: Header=BB6_940 Depth=3
	v_and_b32_e32 v2, 0x108, v62
	v_cmp_ne_u32_e32 vcc, s86, v2
	v_and_b32_e32 v2, 7, v32
	s_and_saveexec_b64 s[26:27], vcc
	s_xor_b64 s[26:27], exec, s[26:27]
                                        ; implicit-def: $vgpr4_vgpr5
; %bb.954:                              ;   in Loop: Header=BB6_940 Depth=3
	v_mov_b32_e32 v5, v52
; %bb.955:                              ;   in Loop: Header=BB6_940 Depth=3
	s_andn2_saveexec_b64 s[26:27], s[26:27]
	s_cbranch_execz .LBB6_957
; %bb.956:                              ;   in Loop: Header=BB6_940 Depth=3
	v_accvgpr_read_b32 v8, a24
	v_accvgpr_read_b32 v9, a25
	v_ashrrev_i32_e32 v15, 31, v14
	v_mov_b32_e32 v5, v52
	v_mad_u64_u32 v[8:9], vcc, v2, 24, v[8:9]
	v_lshlrev_b64 v[10:11], 2, v[14:15]
	flat_store_dwordx2 v[8:9], v[10:11] offset:8
.LBB6_957:                              ;   in Loop: Header=BB6_940 Depth=3
	s_or_b64 exec, exec, s[26:27]
	v_and_b32_e32 v3, 0x100, v62
	v_cmp_ne_u32_e32 vcc, 0, v3
	s_mov_b64 s[26:27], -1
                                        ; implicit-def: $vgpr8_vgpr9
	s_and_saveexec_b64 s[36:37], vcc
	s_cbranch_execz .LBB6_961
; %bb.958:                              ;   in Loop: Header=BB6_940 Depth=3
	v_accvgpr_read_b32 v8, a24
	v_accvgpr_read_b32 v9, a25
	v_mad_u64_u32 v[10:11], s[26:27], v2, 24, v[8:9]
	v_mov_b32_e32 v4, v11
	v_mad_u64_u32 v[8:9], s[26:27], v5, 24, v[4:5]
	v_mov_b32_e32 v11, v8
	flat_load_dword v3, v[10:11]
                                        ; implicit-def: $vgpr8_vgpr9
	s_waitcnt vmcnt(0) lgkmcnt(0)
	v_cmp_ne_u32_e32 vcc, 1, v3
	v_cmp_eq_u32_e64 s[26:27], 1, v3
	s_and_saveexec_b64 s[38:39], s[26:27]
	s_cbranch_execz .LBB6_960
; %bb.959:                              ;   in Loop: Header=BB6_940 Depth=3
	flat_load_dword v8, v[10:11] offset:4 glc
	s_waitcnt vmcnt(0) lgkmcnt(0)
	v_ashrrev_i32_e32 v9, 31, v8
	v_lshrrev_b64 v[8:9], 2, v[8:9]
.LBB6_960:                              ;   in Loop: Header=BB6_940 Depth=3
	s_or_b64 exec, exec, s[38:39]
	s_orn2_b64 s[26:27], vcc, exec
.LBB6_961:                              ;   in Loop: Header=BB6_940 Depth=3
	s_or_b64 exec, exec, s[36:37]
	s_and_saveexec_b64 vcc, s[26:27]
; %bb.962:                              ;   in Loop: Header=BB6_940 Depth=3
	v_mul_lo_u32 v3, v5, v30
	v_mul_lo_u32 v4, v2, v45
	v_mad_u64_u32 v[8:9], s[26:27], v2, v30, 0
	v_add3_u32 v9, v9, v4, v3
; %bb.963:                              ;   in Loop: Header=BB6_940 Depth=3
	s_or_b64 exec, exec, vcc
	v_lshlrev_b64 v[2:3], 2, v[8:9]
	v_add_co_u32_e32 v2, vcc, v36, v2
	v_addc_co_u32_e32 v3, vcc, v37, v3, vcc
	s_trap 2
	ds_write_b64 v0, v[2:3]
	v_and_b32_e32 v2, 0x2000, v62
	v_cmp_ne_u32_e32 vcc, 0, v2
	s_and_saveexec_b64 s[26:27], vcc
	s_cbranch_execz .LBB6_965
; %bb.964:                              ;   in Loop: Header=BB6_940 Depth=3
	ds_read_b64 v[2:3], v0 offset:584
	s_waitcnt lgkmcnt(0)
	v_add_co_u32_e32 v2, vcc, 1, v2
	v_addc_co_u32_e32 v3, vcc, 0, v3, vcc
	ds_write_b64 v0, v[2:3] offset:584
.LBB6_965:                              ;   in Loop: Header=BB6_940 Depth=3
	s_or_b64 exec, exec, s[26:27]
	v_add_co_u32_e32 v32, vcc, 2, v32
	v_addc_co_u32_e32 v33, vcc, 0, v33, vcc
	s_or_b64 exec, exec, s[34:35]
	s_and_saveexec_b64 s[26:27], s[10:11]
	s_cbranch_execnz .LBB6_971
.LBB6_966:                              ;   in Loop: Header=BB6_940 Depth=3
	s_or_b64 exec, exec, s[26:27]
                                        ; implicit-def: $vgpr2
	s_and_saveexec_b64 s[26:27], s[22:23]
	s_xor_b64 s[26:27], exec, s[26:27]
	s_cbranch_execz .LBB6_989
.LBB6_967:                              ;   in Loop: Header=BB6_940 Depth=3
	s_trap 2
	ds_read_b32 v3, v0
	v_cmp_lt_i32_e32 vcc, 0, v14
	v_and_b32_e32 v4, 16, v62
	v_and_b32_e32 v2, 16, v62
	s_waitcnt lgkmcnt(0)
	v_readfirstlane_b32 s34, v3
	s_cmp_eq_u32 s34, 0
	s_cselect_b64 s[34:35], -1, 0
	s_and_b64 s[34:35], vcc, s[34:35]
	v_cmp_ne_u32_e32 vcc, 0, v4
	s_and_b64 s[34:35], vcc, s[34:35]
	s_and_saveexec_b64 vcc, s[34:35]
	s_cbranch_execz .LBB6_969
; %bb.968:                              ;   in Loop: Header=BB6_940 Depth=3
	v_mov_b32_e32 v2, 1
	s_waitcnt vmcnt(0)
	buffer_wbinvl1_vol
.LBB6_969:                              ;   in Loop: Header=BB6_940 Depth=3
	s_or_b64 exec, exec, vcc
	s_andn2_saveexec_b64 s[26:27], s[26:27]
	s_cbranch_execz .LBB6_1008
	s_branch .LBB6_990
.LBB6_970:                              ;   in Loop: Header=BB6_940 Depth=3
	s_or_b64 exec, exec, s[34:35]
	s_and_saveexec_b64 s[26:27], s[10:11]
	s_cbranch_execz .LBB6_966
.LBB6_971:                              ;   in Loop: Header=BB6_940 Depth=3
	s_and_saveexec_b64 vcc, s[52:53]
	s_xor_b64 s[34:35], exec, vcc
	s_cbranch_execz .LBB6_986
; %bb.972:                              ;   in Loop: Header=BB6_940 Depth=3
	s_and_saveexec_b64 s[36:37], s[16:17]
	s_cbranch_execz .LBB6_985
; %bb.973:                              ;   in Loop: Header=BB6_940 Depth=3
	s_mov_b64 s[40:41], exec
	v_mbcnt_lo_u32_b32 v2, s40, 0
	v_mbcnt_hi_u32_b32 v2, s41, v2
	v_cmp_eq_u32_e32 vcc, 0, v2
	s_waitcnt vmcnt(0) lgkmcnt(0)
	buffer_wbinvl1_vol
	s_and_saveexec_b64 s[38:39], vcc
	s_cbranch_execz .LBB6_975
; %bb.974:                              ;   in Loop: Header=BB6_940 Depth=3
	s_bcnt1_i32_b64 vcc_lo, s[40:41]
	v_mov_b32_e32 v2, vcc_lo
	v_mov_b32_e32 v3, v52
	ds_add_u64 v0, v[2:3]
	s_trap 2
.LBB6_975:                              ;   in Loop: Header=BB6_940 Depth=3
	s_or_b64 exec, exec, s[38:39]
	s_trap 2
	ds_read_b64 v[2:3], v0
	v_add_co_u32_e32 v48, vcc, v48, v54
	v_addc_co_u32_e32 v49, vcc, 0, v49, vcc
	s_waitcnt lgkmcnt(0)
	v_cmp_lt_u64_e32 vcc, v[2:3], v[48:49]
	s_and_saveexec_b64 s[38:39], vcc
	s_cbranch_execz .LBB6_984
; %bb.976:                              ;   in Loop: Header=BB6_940 Depth=3
	s_mov_b32 s64, 0
	s_mov_b64 s[40:41], 0
                                        ; implicit-def: $sgpr42_sgpr43
                                        ; implicit-def: $sgpr44_sgpr45
	s_branch .LBB6_978
.LBB6_977:                              ;   in Loop: Header=BB6_978 Depth=4
	s_or_b64 exec, exec, s[62:63]
	s_and_b64 vcc, exec, vcc
	s_or_b64 s[40:41], vcc, s[40:41]
	s_andn2_b64 vcc, s[42:43], exec
	s_and_b64 s[42:43], s[44:45], exec
	s_or_b64 s[42:43], vcc, s[42:43]
	s_andn2_b64 exec, exec, s[40:41]
	s_cbranch_execz .LBB6_982
.LBB6_978:                              ;   Parent Loop BB6_47 Depth=1
                                        ;     Parent Loop BB6_756 Depth=2
                                        ;       Parent Loop BB6_940 Depth=3
                                        ; =>      This Inner Loop Header: Depth=4
	s_add_i32 s64, s64, 1
	s_cmpk_lg_i32 s64, 0x2710
	s_cselect_b64 s[60:61], -1, 0
	s_and_b64 vcc, exec, s[60:61]
                                        ; implicit-def: $sgpr62_sgpr63
	s_cbranch_vccnz .LBB6_980
; %bb.979:                              ;   in Loop: Header=BB6_978 Depth=4
	s_trap 2
	ds_read_b64 v[2:3], v0
	s_andn2_b64 s[60:61], s[60:61], exec
	s_mov_b32 s64, 0
	s_mov_b64 s[62:63], -1
	s_waitcnt lgkmcnt(0)
	flat_load_dword v2, v[2:3] glc
	s_waitcnt vmcnt(0) lgkmcnt(0)
	buffer_invl2
	buffer_wbinvl1_vol
	v_cmp_eq_u32_e32 vcc, 0, v2
	s_and_b64 vcc, vcc, exec
	s_or_b64 s[60:61], s[60:61], vcc
.LBB6_980:                              ;   in Loop: Header=BB6_978 Depth=4
	s_andn2_b64 s[44:45], s[44:45], exec
	s_and_b64 s[62:63], s[62:63], exec
	s_mov_b64 vcc, -1
	s_or_b64 s[44:45], s[44:45], s[62:63]
	s_and_saveexec_b64 s[62:63], s[60:61]
	s_cbranch_execz .LBB6_977
; %bb.981:                              ;   in Loop: Header=BB6_978 Depth=4
	s_sleep 1
	s_trap 2
	ds_read_b64 v[2:3], v0
	s_andn2_b64 s[44:45], s[44:45], exec
	s_waitcnt lgkmcnt(0)
	v_cmp_ge_u64_e32 vcc, v[2:3], v[48:49]
	s_orn2_b64 vcc, vcc, exec
	s_branch .LBB6_977
.LBB6_982:                              ;   in Loop: Header=BB6_940 Depth=3
	s_or_b64 exec, exec, s[40:41]
	s_and_saveexec_b64 vcc, s[42:43]
	s_xor_b64 vcc, exec, vcc
	s_cbranch_execz .LBB6_984
; %bb.983:                              ;   in Loop: Header=BB6_940 Depth=3
	ds_write_b32 v0, v57
	s_trap 2
.LBB6_984:                              ;   in Loop: Header=BB6_940 Depth=3
	s_or_b64 exec, exec, s[38:39]
	;;#ASMSTART
	s_wakeup
	;;#ASMEND
.LBB6_985:                              ;   in Loop: Header=BB6_940 Depth=3
	s_or_b64 exec, exec, s[36:37]
.LBB6_986:                              ;   in Loop: Header=BB6_940 Depth=3
	s_andn2_saveexec_b64 vcc, s[34:35]
	s_cbranch_execz .LBB6_988
; %bb.987:                              ;   in Loop: Header=BB6_940 Depth=3
	s_waitcnt vmcnt(0) lgkmcnt(0)
	buffer_wbinvl1_vol
	s_barrier
.LBB6_988:                              ;   in Loop: Header=BB6_940 Depth=3
	s_or_b64 exec, exec, vcc
	s_or_b64 exec, exec, s[26:27]
                                        ; implicit-def: $vgpr2
	s_and_saveexec_b64 s[26:27], s[22:23]
	s_xor_b64 s[26:27], exec, s[26:27]
	s_cbranch_execnz .LBB6_967
.LBB6_989:                              ;   in Loop: Header=BB6_940 Depth=3
	s_andn2_saveexec_b64 s[26:27], s[26:27]
	s_cbranch_execz .LBB6_1008
.LBB6_990:                              ;   in Loop: Header=BB6_940 Depth=3
	s_and_saveexec_b64 vcc, s[52:53]
	s_xor_b64 s[34:35], exec, vcc
	s_cbranch_execz .LBB6_1005
; %bb.991:                              ;   in Loop: Header=BB6_940 Depth=3
	s_and_saveexec_b64 s[36:37], s[16:17]
	s_cbranch_execz .LBB6_1004
; %bb.992:                              ;   in Loop: Header=BB6_940 Depth=3
	s_mov_b64 s[40:41], exec
	v_mbcnt_lo_u32_b32 v2, s40, 0
	v_mbcnt_hi_u32_b32 v2, s41, v2
	v_cmp_eq_u32_e32 vcc, 0, v2
	;;#ASMSTART
	s_waitcnt lgkmcnt(0) vmcnt(0)
	;;#ASMEND
	s_and_saveexec_b64 s[38:39], vcc
	s_cbranch_execz .LBB6_994
; %bb.993:                              ;   in Loop: Header=BB6_940 Depth=3
	s_bcnt1_i32_b64 vcc_lo, s[40:41]
	v_mov_b32_e32 v2, vcc_lo
	v_mov_b32_e32 v3, v52
	ds_add_u64 v0, v[2:3]
	s_trap 2
.LBB6_994:                              ;   in Loop: Header=BB6_940 Depth=3
	s_or_b64 exec, exec, s[38:39]
	s_trap 2
	ds_read_b64 v[2:3], v0
	v_add_co_u32_e32 v48, vcc, v48, v54
	v_addc_co_u32_e32 v49, vcc, 0, v49, vcc
	s_waitcnt lgkmcnt(0)
	v_cmp_lt_u64_e32 vcc, v[2:3], v[48:49]
	s_and_saveexec_b64 s[38:39], vcc
	s_cbranch_execz .LBB6_1003
; %bb.995:                              ;   in Loop: Header=BB6_940 Depth=3
	s_mov_b32 s64, 0
	s_mov_b64 s[40:41], 0
                                        ; implicit-def: $sgpr42_sgpr43
                                        ; implicit-def: $sgpr44_sgpr45
	s_branch .LBB6_997
.LBB6_996:                              ;   in Loop: Header=BB6_997 Depth=4
	s_or_b64 exec, exec, s[62:63]
	s_and_b64 vcc, exec, vcc
	s_or_b64 s[40:41], vcc, s[40:41]
	s_andn2_b64 vcc, s[42:43], exec
	s_and_b64 s[42:43], s[44:45], exec
	s_or_b64 s[42:43], vcc, s[42:43]
	s_andn2_b64 exec, exec, s[40:41]
	s_cbranch_execz .LBB6_1001
.LBB6_997:                              ;   Parent Loop BB6_47 Depth=1
                                        ;     Parent Loop BB6_756 Depth=2
                                        ;       Parent Loop BB6_940 Depth=3
                                        ; =>      This Inner Loop Header: Depth=4
	s_add_i32 s64, s64, 1
	s_cmpk_lg_i32 s64, 0x2710
	s_cselect_b64 s[60:61], -1, 0
	s_and_b64 vcc, exec, s[60:61]
                                        ; implicit-def: $sgpr62_sgpr63
	s_cbranch_vccnz .LBB6_999
; %bb.998:                              ;   in Loop: Header=BB6_997 Depth=4
	s_trap 2
	ds_read_b64 v[2:3], v0
	s_andn2_b64 s[60:61], s[60:61], exec
	s_mov_b32 s64, 0
	s_mov_b64 s[62:63], -1
	s_waitcnt vmcnt(0) lgkmcnt(0)
	flat_load_dword v2, v[2:3] glc
	s_waitcnt vmcnt(0) lgkmcnt(0)
	buffer_invl2
	buffer_wbinvl1_vol
	v_cmp_eq_u32_e32 vcc, 0, v2
	s_and_b64 vcc, vcc, exec
	s_or_b64 s[60:61], s[60:61], vcc
.LBB6_999:                              ;   in Loop: Header=BB6_997 Depth=4
	s_andn2_b64 s[44:45], s[44:45], exec
	s_and_b64 s[62:63], s[62:63], exec
	s_mov_b64 vcc, -1
	s_or_b64 s[44:45], s[44:45], s[62:63]
	s_and_saveexec_b64 s[62:63], s[60:61]
	s_cbranch_execz .LBB6_996
; %bb.1000:                             ;   in Loop: Header=BB6_997 Depth=4
	s_sleep 1
	s_trap 2
	ds_read_b64 v[2:3], v0
	s_andn2_b64 s[44:45], s[44:45], exec
	s_waitcnt lgkmcnt(0)
	v_cmp_ge_u64_e32 vcc, v[2:3], v[48:49]
	s_orn2_b64 vcc, vcc, exec
	s_branch .LBB6_996
.LBB6_1001:                             ;   in Loop: Header=BB6_940 Depth=3
	s_or_b64 exec, exec, s[40:41]
	s_and_saveexec_b64 vcc, s[42:43]
	s_xor_b64 vcc, exec, vcc
	s_cbranch_execz .LBB6_1003
; %bb.1002:                             ;   in Loop: Header=BB6_940 Depth=3
	ds_write_b32 v0, v57
	s_trap 2
.LBB6_1003:                             ;   in Loop: Header=BB6_940 Depth=3
	s_or_b64 exec, exec, s[38:39]
	;;#ASMSTART
	s_wakeup
	;;#ASMEND
.LBB6_1004:                             ;   in Loop: Header=BB6_940 Depth=3
	s_or_b64 exec, exec, s[36:37]
.LBB6_1005:                             ;   in Loop: Header=BB6_940 Depth=3
	s_andn2_saveexec_b64 vcc, s[34:35]
	s_cbranch_execz .LBB6_1007
; %bb.1006:                             ;   in Loop: Header=BB6_940 Depth=3
	;;#ASMSTART
	s_waitcnt lgkmcnt(0) vmcnt(0)
	;;#ASMEND
	s_barrier
.LBB6_1007:                             ;   in Loop: Header=BB6_940 Depth=3
	s_or_b64 exec, exec, vcc
	v_and_b32_e32 v2, 16, v62
.LBB6_1008:                             ;   in Loop: Header=BB6_940 Depth=3
	s_or_b64 exec, exec, s[26:27]
	v_cmp_ne_u32_e32 vcc, 0, v2
	s_xor_b64 s[26:27], s[12:13], -1
	s_and_b64 vcc, vcc, s[26:27]
	s_and_saveexec_b64 s[26:27], vcc
	s_cbranch_execz .LBB6_1010
; %bb.1009:                             ;   in Loop: Header=BB6_940 Depth=3
	flat_store_dword v[46:47], v57
.LBB6_1010:                             ;   in Loop: Header=BB6_940 Depth=3
	s_or_b64 exec, exec, s[26:27]
	v_and_b32_e32 v2, 48, v62
	v_cmp_ne_u32_e32 vcc, 0, v2
	s_and_saveexec_b64 s[26:27], vcc
	s_cbranch_execz .LBB6_939
; %bb.1011:                             ;   in Loop: Header=BB6_940 Depth=3
	v_add_co_u32_e32 v32, vcc, 2, v32
	v_addc_co_u32_e32 v33, vcc, 0, v33, vcc
	flat_store_dwordx2 v[34:35], v[32:33]
	s_branch .LBB6_939
.LBB6_1012:                             ;   in Loop: Header=BB6_756 Depth=2
	s_or_b64 exec, exec, s[30:31]
.LBB6_1013:                             ;   in Loop: Header=BB6_756 Depth=2
	s_or_b64 exec, exec, s[28:29]
	buffer_load_dword v20, off, s[0:3], s33 offset:92 ; 4-byte Folded Reload
	buffer_load_dword v21, off, s[0:3], s33 offset:96 ; 4-byte Folded Reload
	s_add_i32 s26, s66, 1
	s_cmp_eq_u32 s66, s84
	s_cbranch_scc1 .LBB6_1015
; %bb.1014:                             ;   in Loop: Header=BB6_756 Depth=2
	s_mov_b32 s66, s26
	s_branch .LBB6_756
.LBB6_1015:                             ;   in Loop: Header=BB6_47 Depth=1
	v_accvgpr_read_b32 v8, a30
	v_accvgpr_read_b32 v9, a31
	v_mul_lo_u32 v2, v9, s82
	v_mul_lo_u32 v3, v8, s83
	v_mad_u64_u32 v[4:5], s[26:27], v8, s82, 0
	v_add3_u32 v5, v5, v3, v2
	v_accvgpr_read_b32 v2, a32
	v_accvgpr_read_b32 v3, a33
	v_sub_co_u32_e32 v2, vcc, v2, v4
	v_subb_co_u32_e32 v3, vcc, v3, v5, vcc
	v_cmp_lt_i64_e32 vcc, v[8:9], v[2:3]
	v_cndmask_b32_e32 v2, v2, v8, vcc
	v_max_i32_e32 v14, 0, v2
	v_add_u32_e32 v3, 31, v14
	v_lshrrev_b32_e32 v3, 1, v3
	v_and_b32_e32 v3, 0x3ffffff0, v3
	v_cmp_lt_i32_e32 vcc, 0, v2
	v_max_i32_e32 v15, s81, v3
	s_and_b64 s[26:27], s[58:59], vcc
	v_mov_b32_e32 v3, 0
	v_mov_b32_e32 v2, 0
	s_and_saveexec_b64 s[28:29], s[26:27]
	s_cbranch_execz .LBB6_1155
; %bb.1016:                             ;   in Loop: Header=BB6_47 Depth=1
	v_accvgpr_read_b32 v2, a34
	v_accvgpr_read_b32 v3, a35
	v_add_co_u32_e32 v4, vcc, v4, v2
	v_addc_co_u32_e32 v5, vcc, v5, v3, vcc
	s_mov_b32 s66, 1
	s_mov_b64 s[34:35], -1
	s_mov_b64 s[30:31], 0
	v_mov_b32_e32 v2, 0
	v_lshlrev_b64 v[8:9], 2, v[4:5]
	s_branch .LBB6_1018
.LBB6_1017:                             ;   in Loop: Header=BB6_1018 Depth=2
	s_or_b64 exec, exec, s[26:27]
	v_add_u32_e32 v2, v15, v2
	v_cmp_ge_i32_e32 vcc, v2, v14
	s_xor_b64 s[26:27], s[34:35], -1
	s_or_b64 s[26:27], s[26:27], vcc
	s_and_b64 s[26:27], exec, s[26:27]
	s_or_b64 s[30:31], s[26:27], s[30:31]
	s_mov_b64 s[34:35], 0
	v_mov_b32_e32 v3, s66
	s_mov_b32 s66, 2
	s_andn2_b64 exec, exec, s[30:31]
	s_cbranch_execz .LBB6_1154
.LBB6_1018:                             ;   Parent Loop BB6_47 Depth=1
                                        ; =>  This Loop Header: Depth=2
                                        ;       Child Loop BB6_1026 Depth 3
                                        ;       Child Loop BB6_1050 Depth 3
	;; [unrolled: 1-line block ×9, first 2 shown]
	s_and_saveexec_b64 s[26:27], s[4:5]
	s_cbranch_execz .LBB6_1020
; %bb.1019:                             ;   in Loop: Header=BB6_1018 Depth=2
	s_trap 2
	ds_read_b128 v[10:13], v0
	v_ashrrev_i32_e32 v3, 31, v2
	v_lshlrev_b64 v[4:5], 2, v[2:3]
	s_waitcnt lgkmcnt(0)
	v_add_co_u32_e32 v10, vcc, v10, v8
	v_addc_co_u32_e32 v11, vcc, v11, v9, vcc
	v_add_co_u32_e32 v10, vcc, v10, v4
	v_addc_co_u32_e32 v11, vcc, v11, v5, vcc
	v_add_co_u32_e32 v3, vcc, v12, v8
	ds_write_b64 v0, v[10:11]
	v_addc_co_u32_e32 v10, vcc, v13, v9, vcc
	v_add_co_u32_e32 v3, vcc, v3, v4
	v_addc_co_u32_e32 v4, vcc, v10, v5, vcc
	v_cmp_ne_u64_e32 vcc, 0, v[12:13]
	v_cndmask_b32_e32 v5, 0, v4, vcc
	v_cndmask_b32_e32 v4, 0, v3, vcc
	ds_write_b64 v0, v[4:5]
.LBB6_1020:                             ;   in Loop: Header=BB6_1018 Depth=2
	s_or_b64 exec, exec, s[26:27]
	v_and_b32_e32 v3, 4, v62
	v_cmp_ne_u32_e32 vcc, 0, v3
	s_mov_b64 s[36:37], -1
	s_and_saveexec_b64 s[26:27], vcc
	s_cbranch_execz .LBB6_1030
; %bb.1021:                             ;   in Loop: Header=BB6_1018 Depth=2
	v_add_co_u32_e32 v4, vcc, 2, v32
	v_addc_co_u32_e32 v5, vcc, 0, v33, vcc
	v_cmp_lt_u64_e32 vcc, v[50:51], v[4:5]
	v_mov_b32_e32 v3, 1
	s_and_saveexec_b64 s[36:37], vcc
	s_cbranch_execz .LBB6_1041
; %bb.1022:                             ;   in Loop: Header=BB6_1018 Depth=2
	s_mov_b64 s[38:39], 0
	v_mov_b32_e32 v3, 0
                                        ; implicit-def: $sgpr40_sgpr41
	s_branch .LBB6_1026
.LBB6_1023:                             ;   in Loop: Header=BB6_1026 Depth=3
	s_or_b64 exec, exec, s[62:63]
	v_mov_b32_e32 v10, 0
	s_orn2_b64 s[60:61], s[60:61], exec
.LBB6_1024:                             ;   in Loop: Header=BB6_1026 Depth=3
	s_or_b64 exec, exec, s[44:45]
	s_andn2_b64 vcc, s[40:41], exec
	s_and_b64 s[40:41], s[60:61], exec
	s_or_b64 s[40:41], vcc, s[40:41]
	v_mov_b32_e32 v3, v10
.LBB6_1025:                             ;   in Loop: Header=BB6_1026 Depth=3
	s_or_b64 exec, exec, s[42:43]
	s_waitcnt vmcnt(0) lgkmcnt(0)
	v_cmp_ge_u64_e32 vcc, v[50:51], v[4:5]
	s_xor_b64 s[42:43], s[40:41], -1
	s_or_b64 vcc, s[42:43], vcc
	s_and_b64 vcc, exec, vcc
	s_or_b64 s[38:39], vcc, s[38:39]
	s_andn2_b64 exec, exec, s[38:39]
	s_cbranch_execz .LBB6_1040
.LBB6_1026:                             ;   Parent Loop BB6_47 Depth=1
                                        ;     Parent Loop BB6_1018 Depth=2
                                        ; =>    This Inner Loop Header: Depth=3
	s_sleep 1
	flat_load_dwordx2 v[50:51], v[34:35] glc
	v_and_b32_e32 v10, 64, v62
	v_cmp_eq_u32_e32 vcc, 0, v10
	s_andn2_b64 s[40:41], s[40:41], exec
	s_and_saveexec_b64 s[42:43], vcc
	s_cbranch_execz .LBB6_1025
; %bb.1027:                             ;   in Loop: Header=BB6_1026 Depth=3
	v_add_u32_e32 v10, 1, v3
	v_cmp_lt_i32_e32 vcc, s85, v3
	s_mov_b64 s[60:61], -1
	s_and_saveexec_b64 s[44:45], vcc
	s_cbranch_execz .LBB6_1024
; %bb.1028:                             ;   in Loop: Header=BB6_1026 Depth=3
	s_trap 2
	ds_read_b64 v[10:11], v0
	s_waitcnt vmcnt(0) lgkmcnt(0)
	flat_load_dword v3, v[10:11] glc
	s_waitcnt vmcnt(0) lgkmcnt(0)
	buffer_invl2
	buffer_wbinvl1_vol
	v_cmp_ne_u32_e32 vcc, 0, v3
	s_and_saveexec_b64 s[62:63], vcc
	s_cbranch_execz .LBB6_1023
; %bb.1029:                             ;   in Loop: Header=BB6_1026 Depth=3
	v_or_b32_e32 v62, 64, v62
	s_xor_b64 s[60:61], exec, -1
	ds_write_b32 v0, v3
	s_trap 2
	s_branch .LBB6_1023
.LBB6_1030:                             ;   in Loop: Header=BB6_1018 Depth=2
	s_or_b64 exec, exec, s[26:27]
	s_xor_b64 s[26:27], s[36:37], -1
	s_and_saveexec_b64 s[36:37], s[26:27]
	s_cbranch_execz .LBB6_1042
.LBB6_1031:                             ;   in Loop: Header=BB6_1018 Depth=2
	v_and_b32_e32 v3, 0x100, v62
	v_cmp_ne_u32_e32 vcc, 0, v3
	v_and_b32_e32 v3, 7, v32
	s_mov_b64 s[26:27], -1
                                        ; implicit-def: $vgpr4_vgpr5
	s_and_saveexec_b64 s[38:39], vcc
	s_cbranch_execz .LBB6_1035
; %bb.1032:                             ;   in Loop: Header=BB6_1018 Depth=2
	v_accvgpr_read_b32 v4, a24
	v_accvgpr_read_b32 v5, a25
	v_mad_u64_u32 v[10:11], s[26:27], v3, 24, v[4:5]
	flat_load_dword v4, v[10:11]
	s_waitcnt vmcnt(0) lgkmcnt(0)
	v_cmp_ne_u32_e32 vcc, 1, v4
	v_cmp_eq_u32_e64 s[26:27], 1, v4
                                        ; implicit-def: $vgpr4_vgpr5
	s_and_saveexec_b64 s[40:41], s[26:27]
	s_cbranch_execz .LBB6_1034
; %bb.1033:                             ;   in Loop: Header=BB6_1018 Depth=2
	flat_load_dword v4, v[10:11] offset:4 glc
	s_waitcnt vmcnt(0) lgkmcnt(0)
	v_ashrrev_i32_e32 v5, 31, v4
	v_lshrrev_b64 v[4:5], 2, v[4:5]
.LBB6_1034:                             ;   in Loop: Header=BB6_1018 Depth=2
	s_or_b64 exec, exec, s[40:41]
	s_orn2_b64 s[26:27], vcc, exec
.LBB6_1035:                             ;   in Loop: Header=BB6_1018 Depth=2
	s_or_b64 exec, exec, s[38:39]
	s_and_saveexec_b64 vcc, s[26:27]
; %bb.1036:                             ;   in Loop: Header=BB6_1018 Depth=2
	v_mad_i64_i32 v[4:5], s[26:27], v3, v30, 0
; %bb.1037:                             ;   in Loop: Header=BB6_1018 Depth=2
	s_or_b64 exec, exec, vcc
	v_lshlrev_b64 v[4:5], 2, v[4:5]
	v_add_co_u32_e32 v4, vcc, v36, v4
	v_addc_co_u32_e32 v5, vcc, v37, v5, vcc
	v_and_b32_e32 v3, 0x2000, v62
	v_cmp_ne_u32_e32 vcc, 0, v3
	ds_write_b64 v0, v[4:5] offset:720
	s_and_saveexec_b64 s[26:27], vcc
	s_cbranch_execz .LBB6_1039
; %bb.1038:                             ;   in Loop: Header=BB6_1018 Depth=2
	ds_read_b64 v[4:5], v0 offset:584
	s_waitcnt lgkmcnt(0)
	v_add_co_u32_e32 v4, vcc, 1, v4
	v_addc_co_u32_e32 v5, vcc, 0, v5, vcc
	ds_write_b64 v0, v[4:5] offset:584
.LBB6_1039:                             ;   in Loop: Header=BB6_1018 Depth=2
	s_or_b64 exec, exec, s[26:27]
	v_add_co_u32_e32 v32, vcc, 2, v32
	v_addc_co_u32_e32 v33, vcc, 0, v33, vcc
	s_or_b64 exec, exec, s[36:37]
	s_and_saveexec_b64 s[26:27], s[10:11]
	s_cbranch_execz .LBB6_1061
	s_branch .LBB6_1043
.LBB6_1040:                             ;   in Loop: Header=BB6_1018 Depth=2
	s_or_b64 exec, exec, s[38:39]
	v_and_b32_e32 v3, 4, v62
.LBB6_1041:                             ;   in Loop: Header=BB6_1018 Depth=2
	s_or_b64 exec, exec, s[36:37]
	v_cmp_eq_u32_e32 vcc, 0, v3
	s_orn2_b64 s[36:37], vcc, exec
	;;#ASMSTART
	s_wakeup
	;;#ASMEND
	s_or_b64 exec, exec, s[26:27]
	s_xor_b64 s[26:27], s[36:37], -1
	s_and_saveexec_b64 s[36:37], s[26:27]
	s_cbranch_execnz .LBB6_1031
.LBB6_1042:                             ;   in Loop: Header=BB6_1018 Depth=2
	s_or_b64 exec, exec, s[36:37]
	s_and_saveexec_b64 s[26:27], s[10:11]
	s_cbranch_execz .LBB6_1061
.LBB6_1043:                             ;   in Loop: Header=BB6_1018 Depth=2
	s_and_saveexec_b64 vcc, s[52:53]
	s_xor_b64 s[36:37], exec, vcc
	s_cbranch_execz .LBB6_1058
; %bb.1044:                             ;   in Loop: Header=BB6_1018 Depth=2
	s_and_saveexec_b64 s[38:39], s[16:17]
	s_cbranch_execz .LBB6_1057
; %bb.1045:                             ;   in Loop: Header=BB6_1018 Depth=2
	s_mov_b64 s[42:43], exec
	v_mbcnt_lo_u32_b32 v3, s42, 0
	v_mbcnt_hi_u32_b32 v3, s43, v3
	v_cmp_eq_u32_e32 vcc, 0, v3
	s_waitcnt vmcnt(0) lgkmcnt(0)
	buffer_wbinvl1_vol
	s_and_saveexec_b64 s[40:41], vcc
	s_cbranch_execz .LBB6_1047
; %bb.1046:                             ;   in Loop: Header=BB6_1018 Depth=2
	s_bcnt1_i32_b64 vcc_lo, s[42:43]
	v_mov_b32_e32 v4, vcc_lo
	v_mov_b32_e32 v5, v52
	ds_add_u64 v0, v[4:5]
	s_trap 2
.LBB6_1047:                             ;   in Loop: Header=BB6_1018 Depth=2
	s_or_b64 exec, exec, s[40:41]
	s_trap 2
	ds_read_b64 v[4:5], v0
	v_add_co_u32_e32 v48, vcc, v48, v54
	v_addc_co_u32_e32 v49, vcc, 0, v49, vcc
	s_waitcnt lgkmcnt(0)
	v_cmp_lt_u64_e32 vcc, v[4:5], v[48:49]
	s_and_saveexec_b64 s[40:41], vcc
	s_cbranch_execz .LBB6_1056
; %bb.1048:                             ;   in Loop: Header=BB6_1018 Depth=2
	s_mov_b32 s67, 0
	s_mov_b64 s[42:43], 0
                                        ; implicit-def: $sgpr44_sgpr45
                                        ; implicit-def: $sgpr60_sgpr61
	s_branch .LBB6_1050
.LBB6_1049:                             ;   in Loop: Header=BB6_1050 Depth=3
	s_or_b64 exec, exec, s[64:65]
	s_and_b64 vcc, exec, vcc
	s_or_b64 s[42:43], vcc, s[42:43]
	s_andn2_b64 vcc, s[44:45], exec
	s_and_b64 s[44:45], s[60:61], exec
	s_or_b64 s[44:45], vcc, s[44:45]
	s_andn2_b64 exec, exec, s[42:43]
	s_cbranch_execz .LBB6_1054
.LBB6_1050:                             ;   Parent Loop BB6_47 Depth=1
                                        ;     Parent Loop BB6_1018 Depth=2
                                        ; =>    This Inner Loop Header: Depth=3
	s_add_i32 s67, s67, 1
	s_cmpk_lg_i32 s67, 0x2710
	s_cselect_b64 s[62:63], -1, 0
	s_and_b64 vcc, exec, s[62:63]
                                        ; implicit-def: $sgpr64_sgpr65
	s_cbranch_vccnz .LBB6_1052
; %bb.1051:                             ;   in Loop: Header=BB6_1050 Depth=3
	s_trap 2
	ds_read_b64 v[4:5], v0
	s_andn2_b64 s[62:63], s[62:63], exec
	s_mov_b32 s67, 0
	s_mov_b64 s[64:65], -1
	s_waitcnt lgkmcnt(0)
	flat_load_dword v3, v[4:5] glc
	s_waitcnt vmcnt(0) lgkmcnt(0)
	buffer_invl2
	buffer_wbinvl1_vol
	v_cmp_eq_u32_e32 vcc, 0, v3
	s_and_b64 vcc, vcc, exec
	s_or_b64 s[62:63], s[62:63], vcc
.LBB6_1052:                             ;   in Loop: Header=BB6_1050 Depth=3
	s_andn2_b64 s[60:61], s[60:61], exec
	s_and_b64 s[64:65], s[64:65], exec
	s_mov_b64 vcc, -1
	s_or_b64 s[60:61], s[60:61], s[64:65]
	s_and_saveexec_b64 s[64:65], s[62:63]
	s_cbranch_execz .LBB6_1049
; %bb.1053:                             ;   in Loop: Header=BB6_1050 Depth=3
	s_sleep 1
	s_trap 2
	ds_read_b64 v[4:5], v0
	s_andn2_b64 s[60:61], s[60:61], exec
	s_waitcnt lgkmcnt(0)
	v_cmp_ge_u64_e32 vcc, v[4:5], v[48:49]
	s_orn2_b64 vcc, vcc, exec
	s_branch .LBB6_1049
.LBB6_1054:                             ;   in Loop: Header=BB6_1018 Depth=2
	s_or_b64 exec, exec, s[42:43]
	s_and_saveexec_b64 vcc, s[44:45]
	s_xor_b64 vcc, exec, vcc
	s_cbranch_execz .LBB6_1056
; %bb.1055:                             ;   in Loop: Header=BB6_1018 Depth=2
	ds_write_b32 v0, v57
	s_trap 2
.LBB6_1056:                             ;   in Loop: Header=BB6_1018 Depth=2
	s_or_b64 exec, exec, s[40:41]
	;;#ASMSTART
	s_wakeup
	;;#ASMEND
.LBB6_1057:                             ;   in Loop: Header=BB6_1018 Depth=2
	s_or_b64 exec, exec, s[38:39]
.LBB6_1058:                             ;   in Loop: Header=BB6_1018 Depth=2
	s_andn2_saveexec_b64 vcc, s[36:37]
	s_cbranch_execz .LBB6_1060
; %bb.1059:                             ;   in Loop: Header=BB6_1018 Depth=2
	s_waitcnt vmcnt(0) lgkmcnt(0)
	buffer_wbinvl1_vol
	s_barrier
.LBB6_1060:                             ;   in Loop: Header=BB6_1018 Depth=2
	s_or_b64 exec, exec, vcc
.LBB6_1061:                             ;   in Loop: Header=BB6_1018 Depth=2
	s_or_b64 exec, exec, s[26:27]
	s_trap 2
	ds_read_b32 v3, v0
	v_and_b32_e32 v4, 0x4000, v62
	v_cmp_ne_u32_e32 vcc, 0, v4
	s_xor_b64 s[26:27], s[6:7], -1
	s_and_b64 vcc, s[26:27], vcc
	s_and_saveexec_b64 s[26:27], vcc
	s_cbranch_execz .LBB6_1080
; %bb.1062:                             ;   in Loop: Header=BB6_1018 Depth=2
	s_and_saveexec_b64 vcc, s[52:53]
	s_xor_b64 s[36:37], exec, vcc
	s_cbranch_execz .LBB6_1077
; %bb.1063:                             ;   in Loop: Header=BB6_1018 Depth=2
	s_and_saveexec_b64 s[38:39], s[16:17]
	s_cbranch_execz .LBB6_1076
; %bb.1064:                             ;   in Loop: Header=BB6_1018 Depth=2
	s_mov_b64 s[42:43], exec
	v_mbcnt_lo_u32_b32 v4, s42, 0
	v_mbcnt_hi_u32_b32 v4, s43, v4
	v_cmp_eq_u32_e32 vcc, 0, v4
	s_waitcnt vmcnt(0) lgkmcnt(0)
	buffer_wbinvl1_vol
	s_and_saveexec_b64 s[40:41], vcc
	s_cbranch_execz .LBB6_1066
; %bb.1065:                             ;   in Loop: Header=BB6_1018 Depth=2
	s_bcnt1_i32_b64 vcc_lo, s[42:43]
	v_mov_b32_e32 v4, vcc_lo
	v_mov_b32_e32 v5, v52
	ds_add_u64 v0, v[4:5]
	s_trap 2
.LBB6_1066:                             ;   in Loop: Header=BB6_1018 Depth=2
	s_or_b64 exec, exec, s[40:41]
	s_trap 2
	ds_read_b64 v[4:5], v0
	v_add_co_u32_e32 v48, vcc, v48, v54
	v_addc_co_u32_e32 v49, vcc, 0, v49, vcc
	s_waitcnt lgkmcnt(0)
	v_cmp_lt_u64_e32 vcc, v[4:5], v[48:49]
	s_and_saveexec_b64 s[40:41], vcc
	s_cbranch_execz .LBB6_1075
; %bb.1067:                             ;   in Loop: Header=BB6_1018 Depth=2
	s_mov_b32 s67, 0
	s_mov_b64 s[42:43], 0
                                        ; implicit-def: $sgpr44_sgpr45
                                        ; implicit-def: $sgpr60_sgpr61
	s_branch .LBB6_1069
.LBB6_1068:                             ;   in Loop: Header=BB6_1069 Depth=3
	s_or_b64 exec, exec, s[64:65]
	s_and_b64 vcc, exec, vcc
	s_or_b64 s[42:43], vcc, s[42:43]
	s_andn2_b64 vcc, s[44:45], exec
	s_and_b64 s[44:45], s[60:61], exec
	s_or_b64 s[44:45], vcc, s[44:45]
	s_andn2_b64 exec, exec, s[42:43]
	s_cbranch_execz .LBB6_1073
.LBB6_1069:                             ;   Parent Loop BB6_47 Depth=1
                                        ;     Parent Loop BB6_1018 Depth=2
                                        ; =>    This Inner Loop Header: Depth=3
	s_add_i32 s67, s67, 1
	s_cmpk_lg_i32 s67, 0x2710
	s_cselect_b64 s[62:63], -1, 0
	s_and_b64 vcc, exec, s[62:63]
                                        ; implicit-def: $sgpr64_sgpr65
	s_cbranch_vccnz .LBB6_1071
; %bb.1070:                             ;   in Loop: Header=BB6_1069 Depth=3
	s_trap 2
	ds_read_b64 v[4:5], v0
	s_andn2_b64 s[62:63], s[62:63], exec
	s_mov_b32 s67, 0
	s_mov_b64 s[64:65], -1
	s_waitcnt lgkmcnt(0)
	flat_load_dword v4, v[4:5] glc
	s_waitcnt vmcnt(0) lgkmcnt(0)
	buffer_invl2
	buffer_wbinvl1_vol
	v_cmp_eq_u32_e32 vcc, 0, v4
	s_and_b64 vcc, vcc, exec
	s_or_b64 s[62:63], s[62:63], vcc
.LBB6_1071:                             ;   in Loop: Header=BB6_1069 Depth=3
	s_andn2_b64 s[60:61], s[60:61], exec
	s_and_b64 s[64:65], s[64:65], exec
	s_mov_b64 vcc, -1
	s_or_b64 s[60:61], s[60:61], s[64:65]
	s_and_saveexec_b64 s[64:65], s[62:63]
	s_cbranch_execz .LBB6_1068
; %bb.1072:                             ;   in Loop: Header=BB6_1069 Depth=3
	s_sleep 1
	s_trap 2
	ds_read_b64 v[4:5], v0
	s_andn2_b64 s[60:61], s[60:61], exec
	s_waitcnt lgkmcnt(0)
	v_cmp_ge_u64_e32 vcc, v[4:5], v[48:49]
	s_orn2_b64 vcc, vcc, exec
	s_branch .LBB6_1068
.LBB6_1073:                             ;   in Loop: Header=BB6_1018 Depth=2
	s_or_b64 exec, exec, s[42:43]
	s_and_saveexec_b64 vcc, s[44:45]
	s_xor_b64 vcc, exec, vcc
	s_cbranch_execz .LBB6_1075
; %bb.1074:                             ;   in Loop: Header=BB6_1018 Depth=2
	ds_write_b32 v0, v57
	s_trap 2
.LBB6_1075:                             ;   in Loop: Header=BB6_1018 Depth=2
	s_or_b64 exec, exec, s[40:41]
	;;#ASMSTART
	s_wakeup
	;;#ASMEND
.LBB6_1076:                             ;   in Loop: Header=BB6_1018 Depth=2
	s_or_b64 exec, exec, s[38:39]
.LBB6_1077:                             ;   in Loop: Header=BB6_1018 Depth=2
	s_andn2_saveexec_b64 vcc, s[36:37]
	s_cbranch_execz .LBB6_1079
; %bb.1078:                             ;   in Loop: Header=BB6_1018 Depth=2
	s_waitcnt vmcnt(0) lgkmcnt(0)
	buffer_wbinvl1_vol
	s_barrier
.LBB6_1079:                             ;   in Loop: Header=BB6_1018 Depth=2
	s_or_b64 exec, exec, vcc
.LBB6_1080:                             ;   in Loop: Header=BB6_1018 Depth=2
	s_or_b64 exec, exec, s[26:27]
	s_trap 2
	ds_read_b64 v[4:5], v0
	v_sub_u32_e32 v10, v14, v2
	v_min_i32_e32 v15, v15, v10
	v_mov_b32_e32 v16, 0
	s_waitcnt lgkmcnt(0)
	v_readfirstlane_b32 s26, v4
	v_readfirstlane_b32 s27, v5
	s_cmp_eq_u64 s[26:27], 0
	s_cselect_b64 s[26:27], -1, 0
	s_or_b64 s[26:27], s[26:27], s[26:27]
	s_and_b64 vcc, exec, s[26:27]
	s_cbranch_vccnz .LBB6_1087
; %bb.1081:                             ;   in Loop: Header=BB6_1018 Depth=2
	s_mov_b64 s[26:27], -1
	s_and_saveexec_b64 s[36:37], s[20:21]
	s_cbranch_execz .LBB6_1083
; %bb.1082:                             ;   in Loop: Header=BB6_1018 Depth=2
	ds_read_b32 v4, v0 offset:720
	s_waitcnt lgkmcnt(0)
	v_and_b32_e32 v4, 15, v4
	v_cmp_eq_u32_e32 vcc, 0, v4
	s_orn2_b64 s[26:27], vcc, exec
.LBB6_1083:                             ;   in Loop: Header=BB6_1018 Depth=2
	s_or_b64 exec, exec, s[36:37]
	s_and_saveexec_b64 s[36:37], s[18:19]
	s_cbranch_execz .LBB6_1085
; %bb.1084:                             ;   in Loop: Header=BB6_1018 Depth=2
	ds_read_b32 v4, v0 offset:784
	s_waitcnt lgkmcnt(0)
	v_and_b32_e32 v4, 15, v4
	v_cmp_eq_u32_e32 vcc, 0, v4
	s_and_b64 vcc, s[26:27], vcc
	s_andn2_b64 s[26:27], s[26:27], exec
	s_and_b64 vcc, vcc, exec
	s_or_b64 s[26:27], s[26:27], vcc
.LBB6_1085:                             ;   in Loop: Header=BB6_1018 Depth=2
	s_or_b64 exec, exec, s[36:37]
	v_cmp_eq_u32_e32 vcc, 0, v3
	s_xor_b64 s[26:27], s[26:27], -1
	v_cndmask_b32_e32 v16, 0, v15, vcc
	v_cndmask_b32_e64 v3, 0, 1, s[26:27]
	v_mov_b32_e32 v11, 0
	v_lshlrev_b32_e32 v17, 2, v16
	s_mov_b64 s[38:39], -1
	;;#ASMSTART
	;;#ASMEND
	v_cmp_ne_u32_e32 vcc, 0, v3
	s_cbranch_vccz .LBB6_1099
; %bb.1086:                             ;   in Loop: Header=BB6_1018 Depth=2
	v_mov_b32_e32 v18, v58
	v_mov_b32_e32 v3, v59
	s_and_saveexec_b64 s[26:27], s[38:39]
	s_cbranch_execnz .LBB6_1112
	s_branch .LBB6_1121
.LBB6_1087:                             ;   in Loop: Header=BB6_1018 Depth=2
	s_and_saveexec_b64 s[26:27], s[10:11]
	s_cbranch_execz .LBB6_1122
.LBB6_1088:                             ;   in Loop: Header=BB6_1018 Depth=2
	s_and_saveexec_b64 vcc, s[52:53]
	s_xor_b64 s[36:37], exec, vcc
	s_cbranch_execz .LBB6_1130
; %bb.1089:                             ;   in Loop: Header=BB6_1018 Depth=2
	s_and_saveexec_b64 s[38:39], s[16:17]
	s_cbranch_execz .LBB6_1129
; %bb.1090:                             ;   in Loop: Header=BB6_1018 Depth=2
	s_mov_b64 s[42:43], exec
	v_mbcnt_lo_u32_b32 v3, s42, 0
	v_mbcnt_hi_u32_b32 v3, s43, v3
	v_cmp_eq_u32_e32 vcc, 0, v3
	s_waitcnt vmcnt(0) lgkmcnt(0)
	buffer_wbinvl1_vol
	s_and_saveexec_b64 s[40:41], vcc
	s_cbranch_execz .LBB6_1092
; %bb.1091:                             ;   in Loop: Header=BB6_1018 Depth=2
	s_bcnt1_i32_b64 vcc_lo, s[42:43]
	v_mov_b32_e32 v4, vcc_lo
	v_mov_b32_e32 v5, v52
	ds_add_u64 v0, v[4:5]
	s_trap 2
.LBB6_1092:                             ;   in Loop: Header=BB6_1018 Depth=2
	s_or_b64 exec, exec, s[40:41]
	s_trap 2
	ds_read_b64 v[4:5], v0
	v_add_co_u32_e32 v48, vcc, v48, v54
	v_addc_co_u32_e32 v49, vcc, 0, v49, vcc
	s_waitcnt lgkmcnt(0)
	v_cmp_lt_u64_e32 vcc, v[4:5], v[48:49]
	s_and_saveexec_b64 s[40:41], vcc
	s_cbranch_execz .LBB6_1128
; %bb.1093:                             ;   in Loop: Header=BB6_1018 Depth=2
	s_mov_b32 s67, 0
	s_mov_b64 s[42:43], 0
                                        ; implicit-def: $sgpr44_sgpr45
                                        ; implicit-def: $sgpr60_sgpr61
	s_branch .LBB6_1095
.LBB6_1094:                             ;   in Loop: Header=BB6_1095 Depth=3
	s_or_b64 exec, exec, s[64:65]
	s_and_b64 vcc, exec, vcc
	s_or_b64 s[42:43], vcc, s[42:43]
	s_andn2_b64 vcc, s[44:45], exec
	s_and_b64 s[44:45], s[60:61], exec
	s_or_b64 s[44:45], vcc, s[44:45]
	s_andn2_b64 exec, exec, s[42:43]
	s_cbranch_execz .LBB6_1126
.LBB6_1095:                             ;   Parent Loop BB6_47 Depth=1
                                        ;     Parent Loop BB6_1018 Depth=2
                                        ; =>    This Inner Loop Header: Depth=3
	s_add_i32 s67, s67, 1
	s_cmpk_lg_i32 s67, 0x2710
	s_cselect_b64 s[62:63], -1, 0
	s_and_b64 vcc, exec, s[62:63]
                                        ; implicit-def: $sgpr64_sgpr65
	s_cbranch_vccnz .LBB6_1097
; %bb.1096:                             ;   in Loop: Header=BB6_1095 Depth=3
	s_trap 2
	ds_read_b64 v[4:5], v0
	s_andn2_b64 s[62:63], s[62:63], exec
	s_mov_b32 s67, 0
	s_mov_b64 s[64:65], -1
	s_waitcnt lgkmcnt(0)
	flat_load_dword v3, v[4:5] glc
	s_waitcnt vmcnt(0) lgkmcnt(0)
	buffer_invl2
	buffer_wbinvl1_vol
	v_cmp_eq_u32_e32 vcc, 0, v3
	s_and_b64 vcc, vcc, exec
	s_or_b64 s[62:63], s[62:63], vcc
.LBB6_1097:                             ;   in Loop: Header=BB6_1095 Depth=3
	s_andn2_b64 s[60:61], s[60:61], exec
	s_and_b64 s[64:65], s[64:65], exec
	s_mov_b64 vcc, -1
	s_or_b64 s[60:61], s[60:61], s[64:65]
	s_and_saveexec_b64 s[64:65], s[62:63]
	s_cbranch_execz .LBB6_1094
; %bb.1098:                             ;   in Loop: Header=BB6_1095 Depth=3
	s_sleep 1
	s_trap 2
	ds_read_b64 v[4:5], v0
	s_andn2_b64 s[60:61], s[60:61], exec
	s_waitcnt lgkmcnt(0)
	v_cmp_ge_u64_e32 vcc, v[4:5], v[48:49]
	s_orn2_b64 vcc, vcc, exec
	s_branch .LBB6_1094
.LBB6_1099:                             ;   in Loop: Header=BB6_1018 Depth=2
	v_ashrrev_i32_e32 v3, 31, v17
	v_lshrrev_b32_e32 v3, 20, v3
	v_add_u32_e32 v3, v17, v3
	v_ashrrev_i32_e32 v3, 12, v3
	v_sub_u32_e32 v13, v3, v59
	v_cmp_lt_i32_e32 vcc, 0, v13
	s_and_saveexec_b64 s[26:27], vcc
	s_cbranch_execz .LBB6_1103
; %bb.1100:                             ;   in Loop: Header=BB6_1018 Depth=2
	s_trap 2
	ds_read_b64 v[4:5], v0
	s_mov_b64 s[36:37], 0
	s_waitcnt lgkmcnt(0)
	v_pk_mov_b32 v[10:11], v[4:5], v[4:5] op_sel:[0,1]
.LBB6_1101:                             ;   Parent Loop BB6_47 Depth=1
                                        ;     Parent Loop BB6_1018 Depth=2
                                        ; =>    This Inner Loop Header: Depth=3
	s_waitcnt vmcnt(0)
	v_add_co_u32_e32 v26, vcc, v20, v10
	v_addc_co_u32_e32 v27, vcc, v23, v11, vcc
	global_load_dwordx4 v[18:21], v[26:27], off glc slc
	global_load_dwordx4 v[22:25], v[26:27], off offset:1024 glc slc
	global_load_dwordx4 v[38:41], v[26:27], off offset:2048 glc slc
	;; [unrolled: 1-line block ×3, first 2 shown]
	s_nop 0
	buffer_load_dword v26, off, s[0:3], s33 offset:92 ; 4-byte Folded Reload
	buffer_load_dword v27, off, s[0:3], s33 offset:96 ; 4-byte Folded Reload
	v_sub_u32_e32 v13, v13, v54
	s_waitcnt vmcnt(1)
	v_add_co_u32_e32 v26, vcc, v26, v4
	s_waitcnt vmcnt(0)
	v_addc_co_u32_e32 v27, vcc, v7, v5, vcc
	global_store_dwordx4 v[26:27], v[18:21], off glc slc
	buffer_load_dword v20, off, s[0:3], s33 offset:92 ; 4-byte Folded Reload
	s_nop 0
	buffer_load_dword v21, off, s[0:3], s33 offset:96 ; 4-byte Folded Reload
	v_add_co_u32_e32 v10, vcc, v10, v28
	v_addc_co_u32_e32 v11, vcc, v11, v29, vcc
	v_add_co_u32_e32 v4, vcc, v4, v28
	v_addc_co_u32_e32 v5, vcc, v5, v29, vcc
	v_cmp_gt_i32_e32 vcc, 1, v13
	s_or_b64 s[36:37], vcc, s[36:37]
	global_store_dwordx4 v[26:27], v[22:25], off offset:1024 glc slc
	global_store_dwordx4 v[26:27], v[38:41], off offset:2048 glc slc
	;; [unrolled: 1-line block ×3, first 2 shown]
	v_mov_b32_e32 v23, v7
	s_andn2_b64 exec, exec, s[36:37]
	s_cbranch_execnz .LBB6_1101
; %bb.1102:                             ;   in Loop: Header=BB6_1018 Depth=2
	s_or_b64 exec, exec, s[36:37]
	v_accvgpr_read_b32 v47, a13
	v_accvgpr_read_b32 v24, a28
	;; [unrolled: 1-line block ×8, first 2 shown]
.LBB6_1103:                             ;   in Loop: Header=BB6_1018 Depth=2
	s_or_b64 exec, exec, s[26:27]
	v_lshlrev_b32_e32 v12, 12, v3
	v_cmp_ne_u32_e32 vcc, v17, v12
	s_mov_b64 s[38:39], 0
	v_mov_b32_e32 v11, 0
                                        ; implicit-def: $vgpr18
                                        ; implicit-def: $vgpr3
	s_and_saveexec_b64 s[36:37], vcc
	s_cbranch_execz .LBB6_1111
; %bb.1104:                             ;   in Loop: Header=BB6_1018 Depth=2
	v_lshlrev_b32_e32 v3, 6, v13
	v_accvgpr_read_b32 v5, a20
	v_sub_u32_e32 v3, v5, v3
	v_ashrrev_i32_e32 v5, 31, v3
	v_lshrrev_b32_e32 v5, 26, v5
	v_add_u32_e32 v5, v3, v5
	v_sub_u32_e32 v4, v17, v12
	v_ashrrev_i32_e32 v10, 6, v5
	v_and_b32_e32 v5, 0xffffffc0, v5
	v_sub_u32_e32 v13, v3, v5
	v_ashrrev_i32_e32 v5, 31, v4
	v_lshrrev_b32_e32 v5, 22, v5
	v_add_u32_e32 v5, v4, v5
	v_and_b32_e32 v19, 0xfffffc00, v5
	v_lshlrev_b32_e32 v3, 4, v13
	s_waitcnt vmcnt(0)
	v_sub_u32_e32 v21, v4, v19
	v_lshl_add_u32 v3, v10, 10, v3
	v_ashrrev_i32_e32 v18, 10, v5
	v_cmp_lt_i32_e32 vcc, 15, v21
	v_sub_u32_e32 v11, v4, v3
	v_addc_co_u32_e64 v4, s[26:27], 0, v18, vcc
	v_sub_u32_e32 v20, v4, v10
	v_cmp_lt_i32_e64 s[26:27], 15, v11
	s_and_saveexec_b64 s[38:39], s[26:27]
	s_cbranch_execz .LBB6_1108
; %bb.1105:                             ;   in Loop: Header=BB6_1018 Depth=2
	s_trap 2
	ds_read_b64 v[4:5], v0
	v_add_u32_e32 v10, v3, v12
	v_ashrrev_i32_e32 v3, 31, v10
	s_mov_b64 s[40:41], 0
.LBB6_1106:                             ;   Parent Loop BB6_47 Depth=1
                                        ;     Parent Loop BB6_1018 Depth=2
                                        ; =>    This Inner Loop Header: Depth=3
	s_waitcnt lgkmcnt(0)
	v_add_co_u32_e64 v26, s[26:27], v4, v10
	v_addc_co_u32_e64 v27, s[26:27], v5, v3, s[26:27]
	global_load_dwordx4 v[22:25], v[26:27], off glc slc
	v_add_co_u32_e64 v10, s[26:27], v10, v1
	v_sub_u32_e32 v11, v11, v55
	v_addc_co_u32_e64 v3, s[26:27], v3, v0, s[26:27]
	v_cmp_gt_i32_e64 s[26:27], 16, v11
	v_sub_u32_e32 v20, v20, v54
	s_or_b64 s[40:41], s[26:27], s[40:41]
	s_waitcnt vmcnt(0)
	global_store_dwordx4 v[26:27], v[22:25], off glc slc
	s_andn2_b64 exec, exec, s[40:41]
	s_cbranch_execnz .LBB6_1106
; %bb.1107:                             ;   in Loop: Header=BB6_1018 Depth=2
	s_or_b64 exec, exec, s[40:41]
	v_accvgpr_read_b32 v24, a28
	v_accvgpr_read_b32 v26, a18
	v_mov_b32_e32 v23, v7
	v_accvgpr_read_b32 v25, a29
.LBB6_1108:                             ;   in Loop: Header=BB6_1018 Depth=2
	s_or_b64 exec, exec, s[38:39]
	v_and_b32_e32 v4, 12, v17
	v_cndmask_b32_e32 v17, v21, v4, vcc
	v_cmp_ne_u32_e64 s[26:27], 0, v17
	s_mov_b64 s[38:39], 0
	v_mov_b32_e32 v11, 0
                                        ; implicit-def: $vgpr18
                                        ; implicit-def: $vgpr3
	s_and_saveexec_b64 s[40:41], s[26:27]
	s_cbranch_execz .LBB6_1110
; %bb.1109:                             ;   in Loop: Header=BB6_1018 Depth=2
	v_sub_u32_e32 v3, v21, v4
	v_cndmask_b32_e32 v3, 0, v3, vcc
	v_cmp_lt_i32_e32 vcc, 0, v20
	v_add3_u32 v11, v19, v12, v3
	v_cndmask_b32_e32 v3, 0, v54, vcc
	v_sub_u32_e32 v3, v3, v20
	v_lshl_add_u32 v18, v3, 6, v13
	v_ashrrev_i32_e32 v3, 31, v18
	v_lshrrev_b32_e32 v3, 26, v3
	v_add_u32_e32 v3, v18, v3
	s_mov_b64 s[38:39], exec
	v_ashrrev_i32_e32 v3, 6, v3
.LBB6_1110:                             ;   in Loop: Header=BB6_1018 Depth=2
	s_or_b64 exec, exec, s[40:41]
	buffer_load_dword v20, off, s[0:3], s33 offset:92 ; 4-byte Folded Reload
	buffer_load_dword v21, off, s[0:3], s33 offset:96 ; 4-byte Folded Reload
	s_and_b64 s[38:39], s[38:39], exec
.LBB6_1111:                             ;   in Loop: Header=BB6_1018 Depth=2
	s_or_b64 exec, exec, s[36:37]
	s_and_saveexec_b64 s[26:27], s[38:39]
	s_cbranch_execz .LBB6_1121
.LBB6_1112:                             ;   in Loop: Header=BB6_1018 Depth=2
	v_ashrrev_i32_e32 v4, 31, v17
	v_lshrrev_b32_e32 v4, 21, v4
	v_add_u32_e32 v4, v17, v4
	s_waitcnt vmcnt(0)
	v_ashrrev_i32_e32 v21, 11, v4
	v_sub_u32_e32 v19, v21, v3
	v_ashrrev_i32_e32 v4, 31, v18
	v_cmp_lt_i32_e32 vcc, 0, v19
	v_lshrrev_b32_e32 v20, 26, v4
	s_and_saveexec_b64 s[36:37], vcc
	s_cbranch_execz .LBB6_1116
; %bb.1113:                             ;   in Loop: Header=BB6_1018 Depth=2
	s_trap 2
	ds_read_b64 v[4:5], v0
	v_add_u32_e32 v10, v18, v20
	v_and_b32_e32 v10, 0x3fffffc0, v10
	v_sub_u32_e32 v10, v18, v10
	v_lshlrev_b32_e32 v10, 2, v10
	v_lshlrev_b32_e32 v3, 11, v3
	v_add3_u32 v10, v10, v11, v3
	v_ashrrev_i32_e32 v3, 31, v10
	s_mov_b64 s[38:39], 0
	s_waitcnt lgkmcnt(0)
	v_pk_mov_b32 v[12:13], v[4:5], v[4:5] op_sel:[0,1]
.LBB6_1114:                             ;   Parent Loop BB6_47 Depth=1
                                        ;     Parent Loop BB6_1018 Depth=2
                                        ; =>    This Inner Loop Header: Depth=3
	v_add_co_u32_e32 v22, vcc, v10, v12
	v_addc_co_u32_e32 v23, vcc, v3, v13, vcc
	flat_load_dword v24, v[22:23] glc slc
	flat_load_dword v25, v[22:23] offset:256 glc slc
	flat_load_dword v26, v[22:23] offset:512 glc slc
	flat_load_dword v27, v[22:23] offset:768 glc slc
	flat_load_dword v38, v[22:23] offset:1024 glc slc
	flat_load_dword v39, v[22:23] offset:1280 glc slc
	flat_load_dword v53, v[22:23] offset:1536 glc slc
	flat_load_dword v40, v[22:23] offset:1792 glc slc
	v_add_co_u32_e32 v22, vcc, v10, v4
	v_addc_co_u32_e32 v23, vcc, v3, v5, vcc
	v_add_co_u32_e32 v12, vcc, v12, v42
	v_addc_co_u32_e32 v13, vcc, v13, v31, vcc
	v_add_co_u32_e32 v4, vcc, v4, v42
	v_sub_u32_e32 v19, v19, v54
	v_addc_co_u32_e32 v5, vcc, v5, v31, vcc
	v_cmp_gt_i32_e32 vcc, 1, v19
	s_or_b64 s[38:39], vcc, s[38:39]
	s_waitcnt vmcnt(0) lgkmcnt(0)
	flat_store_dword v[22:23], v24 glc slc
	flat_store_dword v[22:23], v25 offset:256 glc slc
	flat_store_dword v[22:23], v26 offset:512 glc slc
	;; [unrolled: 1-line block ×7, first 2 shown]
	s_andn2_b64 exec, exec, s[38:39]
	s_cbranch_execnz .LBB6_1114
; %bb.1115:                             ;   in Loop: Header=BB6_1018 Depth=2
	s_or_b64 exec, exec, s[38:39]
	v_accvgpr_read_b32 v24, a28
	v_accvgpr_read_b32 v40, a14
	;; [unrolled: 1-line block ×4, first 2 shown]
	v_mov_b32_e32 v23, v7
	v_accvgpr_read_b32 v25, a29
.LBB6_1116:                             ;   in Loop: Header=BB6_1018 Depth=2
	s_or_b64 exec, exec, s[36:37]
	v_lshlrev_b32_e32 v3, 11, v21
	v_cmp_ne_u32_e32 vcc, v17, v3
	s_and_saveexec_b64 s[36:37], vcc
	s_cbranch_execz .LBB6_1120
; %bb.1117:                             ;   in Loop: Header=BB6_1018 Depth=2
	v_add_u32_e32 v4, v18, v20
	v_and_b32_e32 v4, 0xffffffc0, v4
	v_sub_u32_e32 v4, v18, v4
	v_lshlrev_b32_e32 v5, 6, v19
	v_sub_u32_e32 v4, v4, v5
	v_ashrrev_i32_e32 v5, 31, v4
	v_lshrrev_b32_e32 v5, 26, v5
	v_add_u32_e32 v5, v4, v5
	v_and_b32_e32 v10, 0x3fffffc0, v5
	v_sub_u32_e32 v4, v4, v10
	v_lshlrev_b32_e32 v5, 2, v5
	v_and_b32_e32 v5, 0xffffff00, v5
	v_lshlrev_b32_e32 v4, 2, v4
	v_add3_u32 v3, v5, v4, v3
	v_sub_u32_e32 v12, v17, v3
	v_cmp_lt_i32_e32 vcc, 3, v12
	s_and_b64 exec, exec, vcc
	s_cbranch_execz .LBB6_1120
; %bb.1118:                             ;   in Loop: Header=BB6_1018 Depth=2
	s_trap 2
	ds_read_b64 v[4:5], v0
	v_add_u32_e32 v10, v3, v11
	v_ashrrev_i32_e32 v3, 31, v10
	s_mov_b64 s[38:39], 0
.LBB6_1119:                             ;   Parent Loop BB6_47 Depth=1
                                        ;     Parent Loop BB6_1018 Depth=2
                                        ; =>    This Inner Loop Header: Depth=3
	s_waitcnt lgkmcnt(0)
	v_add_co_u32_e32 v18, vcc, v4, v10
	v_addc_co_u32_e32 v19, vcc, v5, v3, vcc
	flat_load_dword v11, v[18:19] glc slc
	v_add_co_u32_e32 v10, vcc, v10, v43
	v_sub_u32_e32 v12, v12, v60
	v_addc_co_u32_e32 v3, vcc, v3, v61, vcc
	v_cmp_gt_i32_e32 vcc, 4, v12
	s_or_b64 s[38:39], vcc, s[38:39]
	s_waitcnt vmcnt(0) lgkmcnt(0)
	flat_store_dword v[18:19], v11 glc slc
	s_andn2_b64 exec, exec, s[38:39]
	s_cbranch_execnz .LBB6_1119
.LBB6_1120:                             ;   in Loop: Header=BB6_1018 Depth=2
	s_or_b64 exec, exec, s[36:37]
	buffer_load_dword v20, off, s[0:3], s33 offset:92 ; 4-byte Folded Reload
	buffer_load_dword v21, off, s[0:3], s33 offset:96 ; 4-byte Folded Reload
.LBB6_1121:                             ;   in Loop: Header=BB6_1018 Depth=2
	s_or_b64 exec, exec, s[26:27]
	v_accvgpr_read_b32 v19, a17
	v_accvgpr_read_b32 v18, a16
	s_and_saveexec_b64 s[26:27], s[10:11]
	s_cbranch_execnz .LBB6_1088
.LBB6_1122:                             ;   in Loop: Header=BB6_1018 Depth=2
	s_or_b64 exec, exec, s[26:27]
	s_and_saveexec_b64 s[26:27], s[22:23]
	s_xor_b64 s[36:37], exec, s[26:27]
	s_cbranch_execz .LBB6_1133
.LBB6_1123:                             ;   in Loop: Header=BB6_1018 Depth=2
	v_and_b32_e32 v3, 16, v62
	v_cmp_lt_i32_e32 vcc, 0, v16
	v_cmp_ne_u32_e64 s[26:27], 0, v3
	s_and_b64 vcc, s[26:27], vcc
	s_and_saveexec_b64 s[26:27], vcc
	s_cbranch_execz .LBB6_1125
; %bb.1124:                             ;   in Loop: Header=BB6_1018 Depth=2
	s_waitcnt vmcnt(0) lgkmcnt(0)
	buffer_wbinvl1_vol
.LBB6_1125:                             ;   in Loop: Header=BB6_1018 Depth=2
	s_or_b64 exec, exec, s[26:27]
	s_andn2_saveexec_b64 s[26:27], s[36:37]
	s_cbranch_execz .LBB6_1152
	s_branch .LBB6_1134
.LBB6_1126:                             ;   in Loop: Header=BB6_1018 Depth=2
	s_or_b64 exec, exec, s[42:43]
	s_and_saveexec_b64 vcc, s[44:45]
	s_xor_b64 vcc, exec, vcc
	s_cbranch_execz .LBB6_1128
; %bb.1127:                             ;   in Loop: Header=BB6_1018 Depth=2
	ds_write_b32 v0, v57
	s_trap 2
.LBB6_1128:                             ;   in Loop: Header=BB6_1018 Depth=2
	s_or_b64 exec, exec, s[40:41]
	;;#ASMSTART
	s_wakeup
	;;#ASMEND
.LBB6_1129:                             ;   in Loop: Header=BB6_1018 Depth=2
	s_or_b64 exec, exec, s[38:39]
.LBB6_1130:                             ;   in Loop: Header=BB6_1018 Depth=2
	s_andn2_saveexec_b64 vcc, s[36:37]
	s_cbranch_execz .LBB6_1132
; %bb.1131:                             ;   in Loop: Header=BB6_1018 Depth=2
	s_waitcnt vmcnt(0) lgkmcnt(0)
	buffer_wbinvl1_vol
	s_barrier
.LBB6_1132:                             ;   in Loop: Header=BB6_1018 Depth=2
	s_or_b64 exec, exec, vcc
	s_or_b64 exec, exec, s[26:27]
	s_and_saveexec_b64 s[26:27], s[22:23]
	s_xor_b64 s[36:37], exec, s[26:27]
	s_cbranch_execnz .LBB6_1123
.LBB6_1133:                             ;   in Loop: Header=BB6_1018 Depth=2
	s_andn2_saveexec_b64 s[26:27], s[36:37]
	s_cbranch_execz .LBB6_1152
.LBB6_1134:                             ;   in Loop: Header=BB6_1018 Depth=2
	s_and_saveexec_b64 vcc, s[52:53]
	s_xor_b64 s[36:37], exec, vcc
	s_cbranch_execz .LBB6_1149
; %bb.1135:                             ;   in Loop: Header=BB6_1018 Depth=2
	s_and_saveexec_b64 s[38:39], s[16:17]
	s_cbranch_execz .LBB6_1148
; %bb.1136:                             ;   in Loop: Header=BB6_1018 Depth=2
	s_mov_b64 s[42:43], exec
	v_mbcnt_lo_u32_b32 v3, s42, 0
	v_mbcnt_hi_u32_b32 v3, s43, v3
	v_cmp_eq_u32_e32 vcc, 0, v3
	;;#ASMSTART
	s_waitcnt lgkmcnt(0) vmcnt(0)
	;;#ASMEND
	s_and_saveexec_b64 s[40:41], vcc
	s_cbranch_execz .LBB6_1138
; %bb.1137:                             ;   in Loop: Header=BB6_1018 Depth=2
	s_bcnt1_i32_b64 vcc_lo, s[42:43]
	v_mov_b32_e32 v4, vcc_lo
	v_mov_b32_e32 v5, v52
	ds_add_u64 v0, v[4:5]
	s_trap 2
.LBB6_1138:                             ;   in Loop: Header=BB6_1018 Depth=2
	s_or_b64 exec, exec, s[40:41]
	s_trap 2
	ds_read_b64 v[4:5], v0
	v_add_co_u32_e32 v48, vcc, v48, v54
	v_addc_co_u32_e32 v49, vcc, 0, v49, vcc
	s_waitcnt lgkmcnt(0)
	v_cmp_lt_u64_e32 vcc, v[4:5], v[48:49]
	s_and_saveexec_b64 s[40:41], vcc
	s_cbranch_execz .LBB6_1147
; %bb.1139:                             ;   in Loop: Header=BB6_1018 Depth=2
	s_mov_b32 s67, 0
	s_mov_b64 s[42:43], 0
                                        ; implicit-def: $sgpr44_sgpr45
                                        ; implicit-def: $sgpr60_sgpr61
	s_branch .LBB6_1141
.LBB6_1140:                             ;   in Loop: Header=BB6_1141 Depth=3
	s_or_b64 exec, exec, s[64:65]
	s_and_b64 vcc, exec, vcc
	s_or_b64 s[42:43], vcc, s[42:43]
	s_andn2_b64 vcc, s[44:45], exec
	s_and_b64 s[44:45], s[60:61], exec
	s_or_b64 s[44:45], vcc, s[44:45]
	s_andn2_b64 exec, exec, s[42:43]
	s_cbranch_execz .LBB6_1145
.LBB6_1141:                             ;   Parent Loop BB6_47 Depth=1
                                        ;     Parent Loop BB6_1018 Depth=2
                                        ; =>    This Inner Loop Header: Depth=3
	s_add_i32 s67, s67, 1
	s_cmpk_lg_i32 s67, 0x2710
	s_cselect_b64 s[62:63], -1, 0
	s_and_b64 vcc, exec, s[62:63]
                                        ; implicit-def: $sgpr64_sgpr65
	s_cbranch_vccnz .LBB6_1143
; %bb.1142:                             ;   in Loop: Header=BB6_1141 Depth=3
	s_trap 2
	ds_read_b64 v[4:5], v0
	s_andn2_b64 s[62:63], s[62:63], exec
	s_mov_b32 s67, 0
	s_mov_b64 s[64:65], -1
	s_waitcnt vmcnt(0) lgkmcnt(0)
	flat_load_dword v3, v[4:5] glc
	s_waitcnt vmcnt(0) lgkmcnt(0)
	buffer_invl2
	buffer_wbinvl1_vol
	v_cmp_eq_u32_e32 vcc, 0, v3
	s_and_b64 vcc, vcc, exec
	s_or_b64 s[62:63], s[62:63], vcc
.LBB6_1143:                             ;   in Loop: Header=BB6_1141 Depth=3
	s_andn2_b64 s[60:61], s[60:61], exec
	s_and_b64 s[64:65], s[64:65], exec
	s_mov_b64 vcc, -1
	s_or_b64 s[60:61], s[60:61], s[64:65]
	s_and_saveexec_b64 s[64:65], s[62:63]
	s_cbranch_execz .LBB6_1140
; %bb.1144:                             ;   in Loop: Header=BB6_1141 Depth=3
	s_sleep 1
	s_trap 2
	ds_read_b64 v[4:5], v0
	s_andn2_b64 s[60:61], s[60:61], exec
	s_waitcnt lgkmcnt(0)
	v_cmp_ge_u64_e32 vcc, v[4:5], v[48:49]
	s_orn2_b64 vcc, vcc, exec
	s_branch .LBB6_1140
.LBB6_1145:                             ;   in Loop: Header=BB6_1018 Depth=2
	s_or_b64 exec, exec, s[42:43]
	s_and_saveexec_b64 vcc, s[44:45]
	s_xor_b64 vcc, exec, vcc
	s_cbranch_execz .LBB6_1147
; %bb.1146:                             ;   in Loop: Header=BB6_1018 Depth=2
	ds_write_b32 v0, v57
	s_trap 2
.LBB6_1147:                             ;   in Loop: Header=BB6_1018 Depth=2
	s_or_b64 exec, exec, s[40:41]
	;;#ASMSTART
	s_wakeup
	;;#ASMEND
.LBB6_1148:                             ;   in Loop: Header=BB6_1018 Depth=2
	s_or_b64 exec, exec, s[38:39]
.LBB6_1149:                             ;   in Loop: Header=BB6_1018 Depth=2
	s_andn2_saveexec_b64 vcc, s[36:37]
	s_cbranch_execz .LBB6_1151
; %bb.1150:                             ;   in Loop: Header=BB6_1018 Depth=2
	;;#ASMSTART
	s_waitcnt lgkmcnt(0) vmcnt(0)
	;;#ASMEND
	s_barrier
.LBB6_1151:                             ;   in Loop: Header=BB6_1018 Depth=2
	s_or_b64 exec, exec, vcc
.LBB6_1152:                             ;   in Loop: Header=BB6_1018 Depth=2
	s_or_b64 exec, exec, s[26:27]
	v_and_b32_e32 v3, 32, v62
	v_cmp_ne_u32_e32 vcc, 0, v3
	s_and_saveexec_b64 s[26:27], vcc
	s_cbranch_execz .LBB6_1017
; %bb.1153:                             ;   in Loop: Header=BB6_1018 Depth=2
	v_add_co_u32_e32 v32, vcc, 2, v32
	v_addc_co_u32_e32 v33, vcc, 0, v33, vcc
	flat_store_dwordx2 v[34:35], v[32:33]
	s_branch .LBB6_1017
.LBB6_1154:                             ;   in Loop: Header=BB6_47 Depth=1
	s_or_b64 exec, exec, s[30:31]
.LBB6_1155:                             ;   in Loop: Header=BB6_47 Depth=1
	s_or_b64 exec, exec, s[28:29]
	v_cmp_gt_i32_e32 vcc, 2, v3
	s_and_saveexec_b64 s[28:29], vcc
	s_cbranch_execz .LBB6_46
; %bb.1156:                             ;   in Loop: Header=BB6_47 Depth=1
	v_cmp_eq_u32_e64 s[26:27], 0, v3
	s_mov_b64 s[30:31], 0
	s_branch .LBB6_1158
.LBB6_1157:                             ;   in Loop: Header=BB6_1158 Depth=2
	s_or_b64 exec, exec, s[26:27]
	v_add_u32_e32 v2, v15, v2
	s_mov_b64 s[26:27], 0
	s_andn2_b64 exec, exec, s[30:31]
	s_cbranch_execz .LBB6_45
.LBB6_1158:                             ;   Parent Loop BB6_47 Depth=1
                                        ; =>  This Loop Header: Depth=2
                                        ;       Child Loop BB6_1164 Depth 3
                                        ;       Child Loop BB6_1188 Depth 3
	;; [unrolled: 1-line block ×3, first 2 shown]
	v_and_b32_e32 v3, 4, v62
	s_mov_b64 s[36:37], -1
	v_cmp_ne_u32_e32 vcc, 0, v3
	s_and_saveexec_b64 s[34:35], vcc
	s_cbranch_execz .LBB6_1170
; %bb.1159:                             ;   in Loop: Header=BB6_1158 Depth=2
	v_add_co_u32_e32 v4, vcc, 2, v32
	v_addc_co_u32_e32 v5, vcc, 0, v33, vcc
	v_cmp_lt_u64_e32 vcc, v[50:51], v[4:5]
	v_mov_b32_e32 v3, 1
	s_and_saveexec_b64 s[36:37], vcc
	s_cbranch_execz .LBB6_1169
; %bb.1160:                             ;   in Loop: Header=BB6_1158 Depth=2
	s_mov_b64 s[38:39], 0
	v_mov_b32_e32 v3, 0
                                        ; implicit-def: $sgpr40_sgpr41
	s_branch .LBB6_1164
.LBB6_1161:                             ;   in Loop: Header=BB6_1164 Depth=3
	s_or_b64 exec, exec, s[62:63]
	v_mov_b32_e32 v8, 0
	s_orn2_b64 s[60:61], s[60:61], exec
.LBB6_1162:                             ;   in Loop: Header=BB6_1164 Depth=3
	s_or_b64 exec, exec, s[44:45]
	s_andn2_b64 vcc, s[40:41], exec
	s_and_b64 s[40:41], s[60:61], exec
	s_or_b64 s[40:41], vcc, s[40:41]
	v_mov_b32_e32 v3, v8
.LBB6_1163:                             ;   in Loop: Header=BB6_1164 Depth=3
	s_or_b64 exec, exec, s[42:43]
	s_waitcnt vmcnt(0) lgkmcnt(0)
	v_cmp_ge_u64_e32 vcc, v[50:51], v[4:5]
	s_xor_b64 s[42:43], s[40:41], -1
	s_or_b64 vcc, s[42:43], vcc
	s_and_b64 vcc, exec, vcc
	s_or_b64 s[38:39], vcc, s[38:39]
	s_andn2_b64 exec, exec, s[38:39]
	s_cbranch_execz .LBB6_1168
.LBB6_1164:                             ;   Parent Loop BB6_47 Depth=1
                                        ;     Parent Loop BB6_1158 Depth=2
                                        ; =>    This Inner Loop Header: Depth=3
	s_sleep 1
	flat_load_dwordx2 v[50:51], v[34:35] glc
	v_and_b32_e32 v8, 64, v62
	v_cmp_eq_u32_e32 vcc, 0, v8
	s_andn2_b64 s[40:41], s[40:41], exec
	s_and_saveexec_b64 s[42:43], vcc
	s_cbranch_execz .LBB6_1163
; %bb.1165:                             ;   in Loop: Header=BB6_1164 Depth=3
	v_add_u32_e32 v8, 1, v3
	v_cmp_lt_i32_e32 vcc, s85, v3
	s_mov_b64 s[60:61], -1
	s_and_saveexec_b64 s[44:45], vcc
	s_cbranch_execz .LBB6_1162
; %bb.1166:                             ;   in Loop: Header=BB6_1164 Depth=3
	s_trap 2
	ds_read_b64 v[8:9], v0
	s_waitcnt vmcnt(0) lgkmcnt(0)
	flat_load_dword v3, v[8:9] glc
	s_waitcnt vmcnt(0) lgkmcnt(0)
	buffer_invl2
	buffer_wbinvl1_vol
	v_cmp_ne_u32_e32 vcc, 0, v3
	s_and_saveexec_b64 s[62:63], vcc
	s_cbranch_execz .LBB6_1161
; %bb.1167:                             ;   in Loop: Header=BB6_1164 Depth=3
	v_or_b32_e32 v62, 64, v62
	s_xor_b64 s[60:61], exec, -1
	ds_write_b32 v0, v3
	s_trap 2
	s_branch .LBB6_1161
.LBB6_1168:                             ;   in Loop: Header=BB6_1158 Depth=2
	s_or_b64 exec, exec, s[38:39]
	v_and_b32_e32 v3, 4, v62
.LBB6_1169:                             ;   in Loop: Header=BB6_1158 Depth=2
	s_or_b64 exec, exec, s[36:37]
	v_cmp_eq_u32_e32 vcc, 0, v3
	s_orn2_b64 s[36:37], vcc, exec
	;;#ASMSTART
	s_wakeup
	;;#ASMEND
.LBB6_1170:                             ;   in Loop: Header=BB6_1158 Depth=2
	s_or_b64 exec, exec, s[34:35]
	s_xor_b64 s[26:27], s[26:27], -1
	s_and_b64 s[26:27], exec, s[26:27]
	s_or_b64 s[30:31], s[26:27], s[30:31]
	s_xor_b64 s[26:27], s[36:37], -1
	s_and_saveexec_b64 s[34:35], s[26:27]
	s_cbranch_execz .LBB6_1180
; %bb.1171:                             ;   in Loop: Header=BB6_1158 Depth=2
	v_and_b32_e32 v3, 0x100, v62
	v_cmp_ne_u32_e32 vcc, 0, v3
	v_and_b32_e32 v3, 7, v32
	s_mov_b64 s[26:27], -1
                                        ; implicit-def: $vgpr4_vgpr5
	s_and_saveexec_b64 s[36:37], vcc
	s_cbranch_execz .LBB6_1175
; %bb.1172:                             ;   in Loop: Header=BB6_1158 Depth=2
	v_accvgpr_read_b32 v4, a24
	v_accvgpr_read_b32 v5, a25
	v_mad_u64_u32 v[8:9], s[26:27], v3, 24, v[4:5]
	flat_load_dword v4, v[8:9]
	s_waitcnt vmcnt(0) lgkmcnt(0)
	v_cmp_ne_u32_e32 vcc, 1, v4
	v_cmp_eq_u32_e64 s[26:27], 1, v4
                                        ; implicit-def: $vgpr4_vgpr5
	s_and_saveexec_b64 s[38:39], s[26:27]
	s_cbranch_execz .LBB6_1174
; %bb.1173:                             ;   in Loop: Header=BB6_1158 Depth=2
	flat_load_dword v4, v[8:9] offset:4 glc
	s_waitcnt vmcnt(0) lgkmcnt(0)
	v_ashrrev_i32_e32 v5, 31, v4
	v_lshrrev_b64 v[4:5], 2, v[4:5]
.LBB6_1174:                             ;   in Loop: Header=BB6_1158 Depth=2
	s_or_b64 exec, exec, s[38:39]
	s_orn2_b64 s[26:27], vcc, exec
.LBB6_1175:                             ;   in Loop: Header=BB6_1158 Depth=2
	s_or_b64 exec, exec, s[36:37]
	s_and_saveexec_b64 vcc, s[26:27]
; %bb.1176:                             ;   in Loop: Header=BB6_1158 Depth=2
	v_mad_i64_i32 v[4:5], s[26:27], v3, v30, 0
; %bb.1177:                             ;   in Loop: Header=BB6_1158 Depth=2
	s_or_b64 exec, exec, vcc
	v_lshlrev_b64 v[4:5], 2, v[4:5]
	v_add_co_u32_e32 v4, vcc, v36, v4
	v_addc_co_u32_e32 v5, vcc, v37, v5, vcc
	v_and_b32_e32 v3, 0x2000, v62
	v_cmp_ne_u32_e32 vcc, 0, v3
	ds_write_b64 v0, v[4:5] offset:720
	s_and_saveexec_b64 s[26:27], vcc
	s_cbranch_execz .LBB6_1179
; %bb.1178:                             ;   in Loop: Header=BB6_1158 Depth=2
	ds_read_b64 v[4:5], v0 offset:584
	s_waitcnt lgkmcnt(0)
	v_add_co_u32_e32 v4, vcc, 1, v4
	v_addc_co_u32_e32 v5, vcc, 0, v5, vcc
	ds_write_b64 v0, v[4:5] offset:584
.LBB6_1179:                             ;   in Loop: Header=BB6_1158 Depth=2
	s_or_b64 exec, exec, s[26:27]
	v_add_co_u32_e32 v32, vcc, 2, v32
	v_addc_co_u32_e32 v33, vcc, 0, v33, vcc
.LBB6_1180:                             ;   in Loop: Header=BB6_1158 Depth=2
	s_or_b64 exec, exec, s[34:35]
	s_and_saveexec_b64 s[26:27], s[10:11]
	s_cbranch_execz .LBB6_1199
; %bb.1181:                             ;   in Loop: Header=BB6_1158 Depth=2
	s_and_saveexec_b64 vcc, s[52:53]
	s_xor_b64 s[34:35], exec, vcc
	s_cbranch_execz .LBB6_1196
; %bb.1182:                             ;   in Loop: Header=BB6_1158 Depth=2
	s_and_saveexec_b64 s[36:37], s[16:17]
	s_cbranch_execz .LBB6_1195
; %bb.1183:                             ;   in Loop: Header=BB6_1158 Depth=2
	s_mov_b64 s[40:41], exec
	v_mbcnt_lo_u32_b32 v3, s40, 0
	v_mbcnt_hi_u32_b32 v3, s41, v3
	v_cmp_eq_u32_e32 vcc, 0, v3
	s_waitcnt vmcnt(0) lgkmcnt(0)
	buffer_wbinvl1_vol
	s_and_saveexec_b64 s[38:39], vcc
	s_cbranch_execz .LBB6_1185
; %bb.1184:                             ;   in Loop: Header=BB6_1158 Depth=2
	s_bcnt1_i32_b64 vcc_lo, s[40:41]
	v_mov_b32_e32 v4, vcc_lo
	v_mov_b32_e32 v5, v52
	ds_add_u64 v0, v[4:5]
	s_trap 2
.LBB6_1185:                             ;   in Loop: Header=BB6_1158 Depth=2
	s_or_b64 exec, exec, s[38:39]
	s_trap 2
	ds_read_b64 v[4:5], v0
	v_add_co_u32_e32 v48, vcc, v48, v54
	v_addc_co_u32_e32 v49, vcc, 0, v49, vcc
	s_waitcnt lgkmcnt(0)
	v_cmp_lt_u64_e32 vcc, v[4:5], v[48:49]
	s_and_saveexec_b64 s[38:39], vcc
	s_cbranch_execz .LBB6_1194
; %bb.1186:                             ;   in Loop: Header=BB6_1158 Depth=2
	s_mov_b32 s64, 0
	s_mov_b64 s[40:41], 0
                                        ; implicit-def: $sgpr42_sgpr43
                                        ; implicit-def: $sgpr44_sgpr45
	s_branch .LBB6_1188
.LBB6_1187:                             ;   in Loop: Header=BB6_1188 Depth=3
	s_or_b64 exec, exec, s[62:63]
	s_and_b64 vcc, exec, vcc
	s_or_b64 s[40:41], vcc, s[40:41]
	s_andn2_b64 vcc, s[42:43], exec
	s_and_b64 s[42:43], s[44:45], exec
	s_or_b64 s[42:43], vcc, s[42:43]
	s_andn2_b64 exec, exec, s[40:41]
	s_cbranch_execz .LBB6_1192
.LBB6_1188:                             ;   Parent Loop BB6_47 Depth=1
                                        ;     Parent Loop BB6_1158 Depth=2
                                        ; =>    This Inner Loop Header: Depth=3
	s_add_i32 s64, s64, 1
	s_cmpk_lg_i32 s64, 0x2710
	s_cselect_b64 s[60:61], -1, 0
	s_and_b64 vcc, exec, s[60:61]
                                        ; implicit-def: $sgpr62_sgpr63
	s_cbranch_vccnz .LBB6_1190
; %bb.1189:                             ;   in Loop: Header=BB6_1188 Depth=3
	s_trap 2
	ds_read_b64 v[4:5], v0
	s_andn2_b64 s[60:61], s[60:61], exec
	s_mov_b32 s64, 0
	s_mov_b64 s[62:63], -1
	s_waitcnt lgkmcnt(0)
	flat_load_dword v3, v[4:5] glc
	s_waitcnt vmcnt(0) lgkmcnt(0)
	buffer_invl2
	buffer_wbinvl1_vol
	v_cmp_eq_u32_e32 vcc, 0, v3
	s_and_b64 vcc, vcc, exec
	s_or_b64 s[60:61], s[60:61], vcc
.LBB6_1190:                             ;   in Loop: Header=BB6_1188 Depth=3
	s_andn2_b64 s[44:45], s[44:45], exec
	s_and_b64 s[62:63], s[62:63], exec
	s_mov_b64 vcc, -1
	s_or_b64 s[44:45], s[44:45], s[62:63]
	s_and_saveexec_b64 s[62:63], s[60:61]
	s_cbranch_execz .LBB6_1187
; %bb.1191:                             ;   in Loop: Header=BB6_1188 Depth=3
	s_sleep 1
	s_trap 2
	ds_read_b64 v[4:5], v0
	s_andn2_b64 s[44:45], s[44:45], exec
	s_waitcnt lgkmcnt(0)
	v_cmp_ge_u64_e32 vcc, v[4:5], v[48:49]
	s_orn2_b64 vcc, vcc, exec
	s_branch .LBB6_1187
.LBB6_1192:                             ;   in Loop: Header=BB6_1158 Depth=2
	s_or_b64 exec, exec, s[40:41]
	s_and_saveexec_b64 vcc, s[42:43]
	s_xor_b64 vcc, exec, vcc
	s_cbranch_execz .LBB6_1194
; %bb.1193:                             ;   in Loop: Header=BB6_1158 Depth=2
	ds_write_b32 v0, v57
	s_trap 2
.LBB6_1194:                             ;   in Loop: Header=BB6_1158 Depth=2
	s_or_b64 exec, exec, s[38:39]
	;;#ASMSTART
	s_wakeup
	;;#ASMEND
.LBB6_1195:                             ;   in Loop: Header=BB6_1158 Depth=2
	s_or_b64 exec, exec, s[36:37]
.LBB6_1196:                             ;   in Loop: Header=BB6_1158 Depth=2
	s_andn2_saveexec_b64 vcc, s[34:35]
	s_cbranch_execz .LBB6_1198
; %bb.1197:                             ;   in Loop: Header=BB6_1158 Depth=2
	s_waitcnt vmcnt(0) lgkmcnt(0)
	buffer_wbinvl1_vol
	s_barrier
.LBB6_1198:                             ;   in Loop: Header=BB6_1158 Depth=2
	s_or_b64 exec, exec, vcc
.LBB6_1199:                             ;   in Loop: Header=BB6_1158 Depth=2
	s_or_b64 exec, exec, s[26:27]
	v_sub_u32_e32 v3, v14, v2
	v_min_i32_e32 v15, v15, v3
	s_and_saveexec_b64 s[26:27], s[22:23]
	s_xor_b64 s[26:27], exec, s[26:27]
	s_cbranch_execz .LBB6_1203
; %bb.1200:                             ;   in Loop: Header=BB6_1158 Depth=2
	s_trap 2
	ds_read_b32 v3, v0
	v_cmp_lt_i32_e32 vcc, 0, v15
	v_and_b32_e32 v4, 16, v62
	s_waitcnt lgkmcnt(0)
	v_readfirstlane_b32 s34, v3
	s_cmp_eq_u32 s34, 0
	s_cselect_b64 s[34:35], -1, 0
	s_and_b64 s[34:35], vcc, s[34:35]
	v_cmp_ne_u32_e32 vcc, 0, v4
	s_and_b64 s[34:35], vcc, s[34:35]
	s_and_saveexec_b64 vcc, s[34:35]
	s_cbranch_execz .LBB6_1202
; %bb.1201:                             ;   in Loop: Header=BB6_1158 Depth=2
	s_waitcnt vmcnt(0)
	buffer_wbinvl1_vol
.LBB6_1202:                             ;   in Loop: Header=BB6_1158 Depth=2
	s_or_b64 exec, exec, vcc
.LBB6_1203:                             ;   in Loop: Header=BB6_1158 Depth=2
	s_andn2_saveexec_b64 s[26:27], s[26:27]
	s_cbranch_execz .LBB6_1222
; %bb.1204:                             ;   in Loop: Header=BB6_1158 Depth=2
	s_and_saveexec_b64 vcc, s[52:53]
	s_xor_b64 s[34:35], exec, vcc
	s_cbranch_execz .LBB6_1219
; %bb.1205:                             ;   in Loop: Header=BB6_1158 Depth=2
	s_and_saveexec_b64 s[36:37], s[16:17]
	s_cbranch_execz .LBB6_1218
; %bb.1206:                             ;   in Loop: Header=BB6_1158 Depth=2
	s_mov_b64 s[40:41], exec
	v_mbcnt_lo_u32_b32 v3, s40, 0
	v_mbcnt_hi_u32_b32 v3, s41, v3
	v_cmp_eq_u32_e32 vcc, 0, v3
	;;#ASMSTART
	s_waitcnt lgkmcnt(0) vmcnt(0)
	;;#ASMEND
	s_and_saveexec_b64 s[38:39], vcc
	s_cbranch_execz .LBB6_1208
; %bb.1207:                             ;   in Loop: Header=BB6_1158 Depth=2
	s_bcnt1_i32_b64 vcc_lo, s[40:41]
	v_mov_b32_e32 v4, vcc_lo
	v_mov_b32_e32 v5, v52
	ds_add_u64 v0, v[4:5]
	s_trap 2
.LBB6_1208:                             ;   in Loop: Header=BB6_1158 Depth=2
	s_or_b64 exec, exec, s[38:39]
	s_trap 2
	ds_read_b64 v[4:5], v0
	v_add_co_u32_e32 v48, vcc, v48, v54
	v_addc_co_u32_e32 v49, vcc, 0, v49, vcc
	s_waitcnt lgkmcnt(0)
	v_cmp_lt_u64_e32 vcc, v[4:5], v[48:49]
	s_and_saveexec_b64 s[38:39], vcc
	s_cbranch_execz .LBB6_1217
; %bb.1209:                             ;   in Loop: Header=BB6_1158 Depth=2
	s_mov_b32 s64, 0
	s_mov_b64 s[40:41], 0
                                        ; implicit-def: $sgpr42_sgpr43
                                        ; implicit-def: $sgpr44_sgpr45
	s_branch .LBB6_1211
.LBB6_1210:                             ;   in Loop: Header=BB6_1211 Depth=3
	s_or_b64 exec, exec, s[62:63]
	s_and_b64 vcc, exec, vcc
	s_or_b64 s[40:41], vcc, s[40:41]
	s_andn2_b64 vcc, s[42:43], exec
	s_and_b64 s[42:43], s[44:45], exec
	s_or_b64 s[42:43], vcc, s[42:43]
	s_andn2_b64 exec, exec, s[40:41]
	s_cbranch_execz .LBB6_1215
.LBB6_1211:                             ;   Parent Loop BB6_47 Depth=1
                                        ;     Parent Loop BB6_1158 Depth=2
                                        ; =>    This Inner Loop Header: Depth=3
	s_add_i32 s64, s64, 1
	s_cmpk_lg_i32 s64, 0x2710
	s_cselect_b64 s[60:61], -1, 0
	s_and_b64 vcc, exec, s[60:61]
                                        ; implicit-def: $sgpr62_sgpr63
	s_cbranch_vccnz .LBB6_1213
; %bb.1212:                             ;   in Loop: Header=BB6_1211 Depth=3
	s_trap 2
	ds_read_b64 v[4:5], v0
	s_andn2_b64 s[60:61], s[60:61], exec
	s_mov_b32 s64, 0
	s_mov_b64 s[62:63], -1
	s_waitcnt vmcnt(0) lgkmcnt(0)
	flat_load_dword v3, v[4:5] glc
	s_waitcnt vmcnt(0) lgkmcnt(0)
	buffer_invl2
	buffer_wbinvl1_vol
	v_cmp_eq_u32_e32 vcc, 0, v3
	s_and_b64 vcc, vcc, exec
	s_or_b64 s[60:61], s[60:61], vcc
.LBB6_1213:                             ;   in Loop: Header=BB6_1211 Depth=3
	s_andn2_b64 s[44:45], s[44:45], exec
	s_and_b64 s[62:63], s[62:63], exec
	s_mov_b64 vcc, -1
	s_or_b64 s[44:45], s[44:45], s[62:63]
	s_and_saveexec_b64 s[62:63], s[60:61]
	s_cbranch_execz .LBB6_1210
; %bb.1214:                             ;   in Loop: Header=BB6_1211 Depth=3
	s_sleep 1
	s_trap 2
	ds_read_b64 v[4:5], v0
	s_andn2_b64 s[44:45], s[44:45], exec
	s_waitcnt lgkmcnt(0)
	v_cmp_ge_u64_e32 vcc, v[4:5], v[48:49]
	s_orn2_b64 vcc, vcc, exec
	s_branch .LBB6_1210
.LBB6_1215:                             ;   in Loop: Header=BB6_1158 Depth=2
	s_or_b64 exec, exec, s[40:41]
	s_and_saveexec_b64 vcc, s[42:43]
	s_xor_b64 vcc, exec, vcc
	s_cbranch_execz .LBB6_1217
; %bb.1216:                             ;   in Loop: Header=BB6_1158 Depth=2
	ds_write_b32 v0, v57
	s_trap 2
.LBB6_1217:                             ;   in Loop: Header=BB6_1158 Depth=2
	s_or_b64 exec, exec, s[38:39]
	;;#ASMSTART
	s_wakeup
	;;#ASMEND
.LBB6_1218:                             ;   in Loop: Header=BB6_1158 Depth=2
	s_or_b64 exec, exec, s[36:37]
.LBB6_1219:                             ;   in Loop: Header=BB6_1158 Depth=2
	s_andn2_saveexec_b64 vcc, s[34:35]
	s_cbranch_execz .LBB6_1221
; %bb.1220:                             ;   in Loop: Header=BB6_1158 Depth=2
	;;#ASMSTART
	s_waitcnt lgkmcnt(0) vmcnt(0)
	;;#ASMEND
	s_barrier
.LBB6_1221:                             ;   in Loop: Header=BB6_1158 Depth=2
	s_or_b64 exec, exec, vcc
.LBB6_1222:                             ;   in Loop: Header=BB6_1158 Depth=2
	s_or_b64 exec, exec, s[26:27]
	v_and_b32_e32 v3, 32, v62
	v_cmp_ne_u32_e32 vcc, 0, v3
	s_and_saveexec_b64 s[26:27], vcc
	s_cbranch_execz .LBB6_1157
; %bb.1223:                             ;   in Loop: Header=BB6_1158 Depth=2
	v_add_co_u32_e32 v32, vcc, 2, v32
	v_addc_co_u32_e32 v33, vcc, 0, v33, vcc
	flat_store_dwordx2 v[34:35], v[32:33]
	s_branch .LBB6_1157
.LBB6_1224:
	s_or_b64 exec, exec, s[50:51]
	s_waitcnt vmcnt(0)
	v_accvgpr_read_b32 v21, a11
	v_accvgpr_read_b32 v18, a0
	;; [unrolled: 1-line block ×5, first 2 shown]
.LBB6_1225:
	s_or_b64 exec, exec, s[48:49]
	v_and_b32_e32 v0, 0x800, v62
	v_cmp_eq_u32_e32 vcc, 0, v0
	s_and_saveexec_b64 s[4:5], vcc
	s_cbranch_execz .LBB6_1260
; %bb.1226:
	v_and_b32_e32 v0, 48, v62
	v_cmp_ne_u32_e32 vcc, 0, v0
	s_and_saveexec_b64 s[6:7], vcc
	s_cbranch_execz .LBB6_1228
; %bb.1227:
	flat_store_dwordx2 v[20:21], v[32:33] offset:104
.LBB6_1228:
	s_or_b64 exec, exec, s[6:7]
	s_movk_i32 s6, 0x88
	v_and_b32_e32 v0, 0x88, v62
	v_cmp_eq_u32_e32 vcc, s6, v0
	s_and_saveexec_b64 s[6:7], vcc
	s_cbranch_execz .LBB6_1240
; %bb.1229:
	v_add_u32_e32 v0, 6, v32
	v_accvgpr_read_b32 v2, a24
	v_and_b32_e32 v0, 7, v0
	v_accvgpr_read_b32 v3, a25
	v_mad_u64_u32 v[0:1], s[10:11], v0, 24, v[2:3]
	v_add_co_u32_e32 v2, vcc, 8, v0
	v_addc_co_u32_e32 v3, vcc, 0, v1, vcc
	s_mov_b64 s[10:11], 0
	v_mov_b32_e32 v0, 0
	s_movk_i32 s24, 0x270e
                                        ; implicit-def: $sgpr12_sgpr13
	s_branch .LBB6_1234
.LBB6_1230:                             ;   in Loop: Header=BB6_1234 Depth=1
	s_or_b64 exec, exec, s[22:23]
	v_mov_b32_e32 v1, 0
	s_orn2_b64 s[20:21], s[20:21], exec
.LBB6_1231:                             ;   in Loop: Header=BB6_1234 Depth=1
	s_or_b64 exec, exec, s[18:19]
	s_and_b64 s[18:19], s[20:21], exec
	v_mov_b32_e32 v0, v1
.LBB6_1232:                             ;   in Loop: Header=BB6_1234 Depth=1
	s_or_b64 exec, exec, s[16:17]
	s_xor_b64 s[16:17], s[18:19], -1
	s_andn2_b64 s[12:13], s[12:13], exec
	s_and_b64 s[16:17], s[16:17], exec
	s_or_b64 s[12:13], s[12:13], s[16:17]
.LBB6_1233:                             ;   in Loop: Header=BB6_1234 Depth=1
	s_or_b64 exec, exec, s[14:15]
	s_and_b64 s[14:15], exec, s[12:13]
	s_or_b64 s[10:11], s[14:15], s[10:11]
	s_andn2_b64 exec, exec, s[10:11]
	s_cbranch_execz .LBB6_1239
.LBB6_1234:                             ; =>This Inner Loop Header: Depth=1
	flat_load_dwordx2 v[4:5], v[2:3] glc
	s_waitcnt vmcnt(0)
	s_or_b64 s[12:13], s[12:13], exec
	s_waitcnt lgkmcnt(0)
	v_cmp_ne_u64_e32 vcc, -1, v[4:5]
	s_and_saveexec_b64 s[14:15], vcc
	s_cbranch_execz .LBB6_1233
; %bb.1235:                             ;   in Loop: Header=BB6_1234 Depth=1
	v_and_b32_e32 v1, 64, v62
	v_cmp_eq_u32_e32 vcc, 0, v1
	s_mov_b64 s[18:19], 0
	s_and_saveexec_b64 s[16:17], vcc
	s_cbranch_execz .LBB6_1232
; %bb.1236:                             ;   in Loop: Header=BB6_1234 Depth=1
	v_add_u32_e32 v1, 1, v0
	v_cmp_lt_i32_e32 vcc, s24, v0
	s_mov_b64 s[20:21], -1
	s_and_saveexec_b64 s[18:19], vcc
	s_cbranch_execz .LBB6_1231
; %bb.1237:                             ;   in Loop: Header=BB6_1234 Depth=1
	s_trap 2
	ds_read_b64 v[0:1], v0
	s_waitcnt lgkmcnt(0)
	flat_load_dword v0, v[0:1] glc
	s_waitcnt vmcnt(0) lgkmcnt(0)
	buffer_invl2
	buffer_wbinvl1_vol
	v_cmp_ne_u32_e32 vcc, 0, v0
	s_and_saveexec_b64 s[22:23], vcc
	s_cbranch_execz .LBB6_1230
; %bb.1238:                             ;   in Loop: Header=BB6_1234 Depth=1
	v_or_b32_e32 v62, 64, v62
	s_xor_b64 s[20:21], exec, -1
	ds_write_b32 v0, v0
	s_trap 2
	s_branch .LBB6_1230
.LBB6_1239:
	s_or_b64 exec, exec, s[10:11]
.LBB6_1240:
	s_or_b64 exec, exec, s[6:7]
	v_and_b32_e32 v0, 0x2000, v62
	v_cmp_ne_u32_e32 vcc, 0, v0
	s_and_saveexec_b64 s[6:7], vcc
	s_cbranch_execz .LBB6_1242
; %bb.1241:
	s_trap 2
	ds_read_b64 v[0:1], v0
	v_accvgpr_read_b32 v2, a8
	v_accvgpr_read_b32 v3, a9
	s_waitcnt lgkmcnt(0)
	flat_store_dwordx2 v[2:3], v[0:1] offset:16
.LBB6_1242:
	s_or_b64 exec, exec, s[6:7]
	v_cmp_ne_u32_e32 vcc, 64, v18
	s_and_b64 exec, exec, vcc
	s_cbranch_execz .LBB6_1260
; %bb.1243:
	v_cmp_ne_u32_sdwa s[6:7], v19, v18 src0_sel:WORD_0 src1_sel:DWORD
	s_and_saveexec_b64 s[10:11], s[6:7]
	s_xor_b64 s[6:7], exec, s[10:11]
	s_cbranch_execz .LBB6_1258
; %bb.1244:
	v_and_b32_e32 v0, 63, v31
	v_cmp_eq_u32_e32 vcc, 0, v0
	s_and_saveexec_b64 s[10:11], vcc
	s_cbranch_execz .LBB6_1257
; %bb.1245:
	s_mov_b64 s[14:15], exec
	v_mbcnt_lo_u32_b32 v0, s14, 0
	v_mbcnt_hi_u32_b32 v0, s15, v0
	v_cmp_eq_u32_e32 vcc, 0, v0
	s_waitcnt vmcnt(0) lgkmcnt(0)
	buffer_wbinvl1_vol
	s_and_saveexec_b64 s[12:13], vcc
	s_cbranch_execz .LBB6_1247
; %bb.1246:
	s_bcnt1_i32_b64 s14, s[14:15]
	v_mov_b32_e32 v0, s14
	v_mov_b32_e32 v1, 0
	ds_add_u64 v0, v[0:1]
	s_trap 2
.LBB6_1247:
	s_or_b64 exec, exec, s[12:13]
	v_ashrrev_i32_e32 v0, 31, v18
	v_lshrrev_b32_e32 v0, 26, v0
	v_add_u32_e32 v0, v18, v0
	v_ashrrev_i32_e32 v0, 6, v0
	s_trap 2
	ds_read_b64 v[2:3], v0
	v_ashrrev_i32_e32 v1, 31, v0
	v_add_co_u32_e32 v0, vcc, v48, v0
	v_addc_co_u32_e32 v1, vcc, v49, v1, vcc
	s_waitcnt lgkmcnt(0)
	v_cmp_lt_u64_e32 vcc, v[2:3], v[0:1]
	s_and_saveexec_b64 s[12:13], vcc
	s_cbranch_execz .LBB6_1256
; %bb.1248:
	s_mov_b32 s26, 0
	s_mov_b64 s[14:15], 0
                                        ; implicit-def: $sgpr16_sgpr17
                                        ; implicit-def: $sgpr18_sgpr19
	s_branch .LBB6_1250
.LBB6_1249:                             ;   in Loop: Header=BB6_1250 Depth=1
	s_or_b64 exec, exec, s[24:25]
	s_and_b64 s[20:21], exec, s[22:23]
	s_or_b64 s[14:15], s[20:21], s[14:15]
	s_andn2_b64 s[16:17], s[16:17], exec
	s_and_b64 s[20:21], s[18:19], exec
	s_or_b64 s[16:17], s[16:17], s[20:21]
	s_andn2_b64 exec, exec, s[14:15]
	s_cbranch_execz .LBB6_1254
.LBB6_1250:                             ; =>This Inner Loop Header: Depth=1
	s_add_i32 s26, s26, 1
	s_cmpk_lg_i32 s26, 0x2710
	s_cselect_b64 s[20:21], -1, 0
	s_and_b64 vcc, exec, s[20:21]
                                        ; implicit-def: $sgpr24_sgpr25
	s_cbranch_vccnz .LBB6_1252
; %bb.1251:                             ;   in Loop: Header=BB6_1250 Depth=1
	s_trap 2
	ds_read_b64 v[2:3], v0
	s_andn2_b64 s[20:21], s[20:21], exec
	s_mov_b32 s26, 0
	s_mov_b64 s[24:25], -1
	s_waitcnt lgkmcnt(0)
	flat_load_dword v2, v[2:3] glc
	s_waitcnt vmcnt(0) lgkmcnt(0)
	buffer_invl2
	buffer_wbinvl1_vol
	v_cmp_eq_u32_e32 vcc, 0, v2
	s_and_b64 s[22:23], vcc, exec
	s_or_b64 s[20:21], s[20:21], s[22:23]
.LBB6_1252:                             ;   in Loop: Header=BB6_1250 Depth=1
	s_andn2_b64 s[18:19], s[18:19], exec
	s_and_b64 s[24:25], s[24:25], exec
	s_mov_b64 s[22:23], -1
	s_or_b64 s[18:19], s[18:19], s[24:25]
	s_and_saveexec_b64 s[24:25], s[20:21]
	s_cbranch_execz .LBB6_1249
; %bb.1253:                             ;   in Loop: Header=BB6_1250 Depth=1
	s_sleep 1
	s_trap 2
	ds_read_b64 v[2:3], v0
	s_andn2_b64 s[18:19], s[18:19], exec
	s_waitcnt lgkmcnt(0)
	v_cmp_ge_u64_e32 vcc, v[2:3], v[0:1]
	s_orn2_b64 s[22:23], vcc, exec
	s_branch .LBB6_1249
.LBB6_1254:
	s_or_b64 exec, exec, s[14:15]
	s_and_saveexec_b64 s[14:15], s[16:17]
	s_xor_b64 s[14:15], exec, s[14:15]
	s_cbranch_execz .LBB6_1256
; %bb.1255:
	v_mov_b32_e32 v0, 1
	ds_write_b32 v0, v0
	s_trap 2
.LBB6_1256:
	s_or_b64 exec, exec, s[12:13]
	;;#ASMSTART
	s_wakeup
	;;#ASMEND
.LBB6_1257:
	s_or_b64 exec, exec, s[10:11]
.LBB6_1258:
	s_andn2_saveexec_b64 s[6:7], s[6:7]
	s_cbranch_execz .LBB6_1260
; %bb.1259:
	s_waitcnt vmcnt(0) lgkmcnt(0)
	buffer_wbinvl1_vol
	s_barrier
.LBB6_1260:
	s_or_b64 exec, exec, s[4:5]
.LBB6_1261:
	s_andn2_saveexec_b64 s[26:27], s[46:47]
	s_cbranch_execz .LBB6_1263
; %bb.1262:
	s_getpc_b64 s[4:5]
	s_add_u32 s4, s4, __PRETTY_FUNCTION__._ZN10PrimitivesIj14FuncSumPostDivIjE12FanSymmetricILi1EELi0E11ProtoSimpleILi2ELi2ELi0ELi4ELi0ELi0EELi0ELb0ELi0ELi0ELi0EEC2EiiPKiS8_PKvPvmhhhP15ncclDevWorkCollP14ncclDevWorkP2pii@rel32@lo+4
	s_addc_u32 s5, s5, __PRETTY_FUNCTION__._ZN10PrimitivesIj14FuncSumPostDivIjE12FanSymmetricILi1EELi0E11ProtoSimpleILi2ELi2ELi0ELi4ELi0ELi0EELi0ELb0ELi0ELi0ELi0EEC2EiiPKiS8_PKvPvmhhhP15ncclDevWorkCollP14ncclDevWorkP2pii@rel32@hi+12
	v_mov_b32_e32 v0, s4
	v_mov_b32_e32 v1, s5
	s_getpc_b64 s[6:7]
	s_add_u32 s6, s6, __assert_fail@rel32@lo+4
	s_addc_u32 s7, s7, __assert_fail@rel32@hi+12
	s_swappc_b64 s[30:31], s[6:7]
	; divergent unreachable
.LBB6_1263:
	s_or_b64 exec, exec, s[26:27]
	buffer_load_dword a39, off, s[0:3], s33 ; 4-byte Folded Reload
	buffer_load_dword a38, off, s[0:3], s33 offset:4 ; 4-byte Folded Reload
	buffer_load_dword a37, off, s[0:3], s33 offset:8 ; 4-byte Folded Reload
	;; [unrolled: 1-line block ×14, first 2 shown]
	s_waitcnt lgkmcnt(0)
	buffer_load_dword v47, off, s[0:3], s33 offset:60 ; 4-byte Folded Reload
	buffer_load_dword v46, off, s[0:3], s33 offset:64 ; 4-byte Folded Reload
	;; [unrolled: 1-line block ×8, first 2 shown]
	v_readlane_b32 s30, v63, 56
	v_readlane_b32 s31, v63, 57
	v_readlane_b32 s89, v63, 55
	v_readlane_b32 s88, v63, 54
	v_readlane_b32 s87, v63, 53
	v_readlane_b32 s86, v63, 52
	v_readlane_b32 s85, v63, 51
	v_readlane_b32 s84, v63, 50
	v_readlane_b32 s83, v63, 49
	v_readlane_b32 s82, v63, 48
	v_readlane_b32 s81, v63, 47
	v_readlane_b32 s80, v63, 46
	v_readlane_b32 s79, v63, 45
	v_readlane_b32 s78, v63, 44
	v_readlane_b32 s77, v63, 43
	v_readlane_b32 s76, v63, 42
	v_readlane_b32 s75, v63, 41
	v_readlane_b32 s74, v63, 40
	v_readlane_b32 s73, v63, 39
	v_readlane_b32 s72, v63, 38
	v_readlane_b32 s71, v63, 37
	v_readlane_b32 s70, v63, 36
	v_readlane_b32 s69, v63, 35
	v_readlane_b32 s68, v63, 34
	v_readlane_b32 s67, v63, 33
	v_readlane_b32 s66, v63, 32
	v_readlane_b32 s65, v63, 31
	v_readlane_b32 s64, v63, 30
	v_readlane_b32 s63, v63, 29
	v_readlane_b32 s62, v63, 28
	v_readlane_b32 s61, v63, 27
	v_readlane_b32 s60, v63, 26
	v_readlane_b32 s59, v63, 25
	v_readlane_b32 s58, v63, 24
	v_readlane_b32 s57, v63, 23
	v_readlane_b32 s56, v63, 22
	v_readlane_b32 s55, v63, 21
	v_readlane_b32 s54, v63, 20
	v_readlane_b32 s53, v63, 19
	v_readlane_b32 s52, v63, 18
	v_readlane_b32 s51, v63, 17
	v_readlane_b32 s50, v63, 16
	v_readlane_b32 s49, v63, 15
	v_readlane_b32 s48, v63, 14
	v_readlane_b32 s47, v63, 13
	v_readlane_b32 s46, v63, 12
	v_readlane_b32 s45, v63, 11
	v_readlane_b32 s44, v63, 10
	v_readlane_b32 s43, v63, 9
	v_readlane_b32 s42, v63, 8
	v_readlane_b32 s41, v63, 7
	v_readlane_b32 s40, v63, 6
	v_readlane_b32 s39, v63, 5
	v_readlane_b32 s38, v63, 4
	v_readlane_b32 s37, v63, 3
	v_readlane_b32 s36, v63, 2
	v_readlane_b32 s35, v63, 1
	v_readlane_b32 s34, v63, 0
	v_readlane_b32 s4, v63, 58
	s_or_saveexec_b64 s[6:7], -1
	buffer_load_dword v63, off, s[0:3], s33 offset:100 ; 4-byte Folded Reload
	s_mov_b64 exec, s[6:7]
	s_addk_i32 s32, 0xe400
	s_mov_b32 s33, s4
	s_waitcnt vmcnt(0)
	s_setpc_b64 s[30:31]
.Lfunc_end6:
	.size	_ZN12_GLOBAL__N_17runRingIj14FuncSumPostDivIjE11ProtoSimpleILi2ELi2ELi0ELi4ELi0ELi0EELi0ELi0ELi4ELi0EEEviiP15ncclDevWorkColl, .Lfunc_end6-_ZN12_GLOBAL__N_17runRingIj14FuncSumPostDivIjE11ProtoSimpleILi2ELi2ELi0ELi4ELi0ELi0EELi0ELi0ELi4ELi0EEEviiP15ncclDevWorkColl
                                        ; -- End function
	.section	.AMDGPU.csdata,"",@progbits
; Function info:
; codeLenInByte = 43180
; NumSgprs: 94
; NumVgprs: 64
; NumAgprs: 40
; TotalNumVgprs: 104
; ScratchSize: 176
; MemoryBound: 1
	.text
	.p2align	2                               ; -- Begin function _Z54ncclDevFunc_AllReduce_RING_SIMPLE_SumPostDiv_u32_0_0_4v
	.type	_Z54ncclDevFunc_AllReduce_RING_SIMPLE_SumPostDiv_u32_0_0_4v,@function
_Z54ncclDevFunc_AllReduce_RING_SIMPLE_SumPostDiv_u32_0_0_4v: ; @_Z54ncclDevFunc_AllReduce_RING_SIMPLE_SumPostDiv_u32_0_0_4v
; %bb.0:
	s_waitcnt vmcnt(0) expcnt(0) lgkmcnt(0)
	s_mov_b32 s4, s33
	s_mov_b32 s33, s32
	s_or_saveexec_b64 s[6:7], -1
	buffer_store_dword v43, off, s[0:3], s33 offset:16 ; 4-byte Folded Spill
	buffer_store_dword v44, off, s[0:3], s33 offset:20 ; 4-byte Folded Spill
	s_mov_b64 exec, s[6:7]
	v_writelane_b32 v44, s4, 2
	s_addk_i32 s32, 0x800
	buffer_store_dword v40, off, s[0:3], s33 offset:12 ; 4-byte Folded Spill
	buffer_store_dword v41, off, s[0:3], s33 offset:8 ; 4-byte Folded Spill
	;; [unrolled: 1-line block ×3, first 2 shown]
	buffer_store_dword v63, off, s[0:3], s33 ; 4-byte Folded Spill
	v_writelane_b32 v43, s34, 0
	v_writelane_b32 v43, s35, 1
	;; [unrolled: 1-line block ×66, first 2 shown]
	s_trap 2
	ds_read_b32 v0, v0
	v_mov_b32_e32 v40, v31
	v_and_b32_e32 v41, 0x3ff, v40
	s_mov_b32 s92, s12
	s_mov_b64 s[90:91], s[8:9]
	s_waitcnt lgkmcnt(0)
	v_cmp_lt_i32_e32 vcc, v41, v0
	s_and_saveexec_b64 s[4:5], vcc
	s_cbranch_execz .LBB7_5
; %bb.1:
	s_load_dword s6, s[90:91], 0x0
	v_mov_b32_e32 v1, 0
	v_mov_b32_e32 v4, v41
                                        ; implicit-def: $vgpr2
	s_waitcnt lgkmcnt(0)
	s_cmp_lt_u32 s92, s6
	s_cselect_b32 s6, 12, 18
	s_add_u32 s6, s90, s6
	s_addc_u32 s7, s91, 0
	global_load_ushort v1, v1, s[6:7]
	s_trap 2
	ds_read_b32 v3, v0
	s_mov_b64 s[6:7], 0
	s_waitcnt vmcnt(0) lgkmcnt(0)
	v_mul_lo_u32 v3, v3, v1
	s_branch .LBB7_3
.LBB7_2:                                ;   in Loop: Header=BB7_3 Depth=1
	s_or_b64 exec, exec, s[8:9]
	v_add_u32_e32 v4, v4, v1
	v_cmp_ge_i32_e32 vcc, v4, v0
	s_or_b64 s[6:7], vcc, s[6:7]
	v_add_u32_e32 v2, v2, v3
	s_andn2_b64 exec, exec, s[6:7]
	s_cbranch_execz .LBB7_5
.LBB7_3:                                ; =>This Inner Loop Header: Depth=1
	ds_read_b32 v5, v2
	s_waitcnt lgkmcnt(0)
	v_and_b32_e32 v5, 0x1000000, v5
	v_cmp_ne_u32_e32 vcc, 0, v5
	s_and_saveexec_b64 s[8:9], vcc
	s_cbranch_execz .LBB7_2
; %bb.4:                                ;   in Loop: Header=BB7_3 Depth=1
	ds_read_b64 v[6:7], v2 offset:104
	s_waitcnt lgkmcnt(0)
	flat_load_dwordx2 v[6:7], v[6:7]
	s_waitcnt vmcnt(0) lgkmcnt(0)
	ds_write_b64 v2, v[6:7] offset:104
	s_branch .LBB7_2
.LBB7_5:
	s_or_b64 exec, exec, s[4:5]
	s_waitcnt lgkmcnt(0)
	s_barrier
	s_trap 2
	ds_read_b32 v0, v0
	s_waitcnt lgkmcnt(0)
	v_cmp_gt_i32_e32 vcc, 1, v0
	s_cbranch_vccnz .LBB7_13
; %bb.6:
	s_mov_b32 s93, 0
	s_mov_b64 s[94:95], src_shared_base
	v_mov_b32_e32 v42, 6
	s_branch .LBB7_8
.LBB7_7:                                ;   in Loop: Header=BB7_8 Depth=1
	s_or_b64 exec, exec, s[96:97]
	s_trap 2
	ds_read_b32 v0, v0
	s_add_i32 s93, s93, 1
	s_waitcnt lgkmcnt(0)
	v_cmp_lt_i32_e32 vcc, s93, v0
	s_cbranch_vccz .LBB7_13
.LBB7_8:                                ; =>This Inner Loop Header: Depth=1
	s_trap 2
	ds_read_b32 v0, v0
	s_cmp_eq_u32 s93, 0
	s_cbranch_scc1 .LBB7_11
; %bb.9:                                ;   in Loop: Header=BB7_8 Depth=1
	s_trap 2
	s_waitcnt lgkmcnt(0)
	ds_read_b32 v1, v0
	s_waitcnt lgkmcnt(0)
	v_xor_b32_e32 v1, v1, v0
	v_and_b32_e32 v1, 0xff0000, v1
	v_cmp_eq_u32_e32 vcc, 0, v1
	s_cbranch_vccnz .LBB7_11
; %bb.10:                               ;   in Loop: Header=BB7_8 Depth=1
	s_barrier
	ds_read_b32 v0, v0
.LBB7_11:                               ;   in Loop: Header=BB7_8 Depth=1
	s_waitcnt lgkmcnt(0)
	v_lshlrev_b32_sdwa v1, v42, v0 dst_sel:DWORD dst_unused:UNUSED_PAD src0_sel:DWORD src1_sel:BYTE_2
	v_cmp_lt_u32_e32 vcc, v41, v1
	s_and_saveexec_b64 s[96:97], vcc
	s_cbranch_execz .LBB7_7
; %bb.12:                               ;   in Loop: Header=BB7_8 Depth=1
	s_mov_b64 s[8:9], s[90:91]
	s_mov_b32 s12, s92
	v_mov_b32_e32 v31, v40
	v_mov_b32_e32 v0, v41
	;; [unrolled: 1-line block ×3, first 2 shown]
	s_getpc_b64 s[4:5]
	s_add_u32 s4, s4, _ZN12_GLOBAL__N_17runRingIj14FuncSumPostDivIjE11ProtoSimpleILi2ELi2ELi0ELi4ELi0ELi0EELi0ELi0ELi4ELi0EEEviiP15ncclDevWorkColl@rel32@lo+4
	s_addc_u32 s5, s5, _ZN12_GLOBAL__N_17runRingIj14FuncSumPostDivIjE11ProtoSimpleILi2ELi2ELi0ELi4ELi0ELi0EELi0ELi0ELi4ELi0EEEviiP15ncclDevWorkColl@rel32@hi+12
	s_swappc_b64 s[30:31], s[4:5]
	s_branch .LBB7_7
.LBB7_13:
	buffer_load_dword v63, off, s[0:3], s33 ; 4-byte Folded Reload
	buffer_load_dword v42, off, s[0:3], s33 offset:4 ; 4-byte Folded Reload
	buffer_load_dword v41, off, s[0:3], s33 offset:8 ; 4-byte Folded Reload
	;; [unrolled: 1-line block ×3, first 2 shown]
	v_readlane_b32 s30, v44, 0
	v_readlane_b32 s31, v44, 1
	;; [unrolled: 1-line block ×67, first 2 shown]
	s_or_saveexec_b64 s[6:7], -1
	buffer_load_dword v43, off, s[0:3], s33 offset:16 ; 4-byte Folded Reload
	buffer_load_dword v44, off, s[0:3], s33 offset:20 ; 4-byte Folded Reload
	s_mov_b64 exec, s[6:7]
	s_addk_i32 s32, 0xf800
	s_mov_b32 s33, s4
	s_waitcnt vmcnt(0)
	s_setpc_b64 s[30:31]
.Lfunc_end7:
	.size	_Z54ncclDevFunc_AllReduce_RING_SIMPLE_SumPostDiv_u32_0_0_4v, .Lfunc_end7-_Z54ncclDevFunc_AllReduce_RING_SIMPLE_SumPostDiv_u32_0_0_4v
                                        ; -- End function
	.section	.AMDGPU.csdata,"",@progbits
; Function info:
; codeLenInByte = 1664
; NumSgprs: 102
; NumVgprs: 64
; NumAgprs: 40
; TotalNumVgprs: 104
; ScratchSize: 208
; MemoryBound: 0
	.text
	.p2alignl 6, 3212836864
	.fill 256, 4, 3212836864
	.type	__const.__assert_fail.fmt,@object ; @__const.__assert_fail.fmt
	.section	.rodata.str1.16,"aMS",@progbits,1
	.p2align	4, 0x0
__const.__assert_fail.fmt:
	.asciz	"%s:%u: %s: Device-side assertion `%s' failed.\n"
	.size	__const.__assert_fail.fmt, 47

	.type	.str.1,@object                  ; @.str.1
	.section	.rodata.str1.1,"aMS",@progbits,1
.str.1:
	.asciz	"2*(nrecv+nsend) <= nthreads"
	.size	.str.1, 28

	.type	.str.2,@object                  ; @.str.2
.str.2:
	.asciz	"/root/src/amdgpu-assembly/repos/ROCm__rccl/hipify/src/device/prims_simple.h"
	.size	.str.2, 76

	.type	__PRETTY_FUNCTION__._ZN10PrimitivesIj14FuncSumPostDivIjE12FanSymmetricILi1EELi0E11ProtoSimpleILi2ELi2ELi0ELi1ELi0ELi0EELi0ELb0ELi0ELi0ELi0EEC2EiiPKiS8_PKvPvmhhhP15ncclDevWorkCollP14ncclDevWorkP2pii,@object ; @__PRETTY_FUNCTION__._ZN10PrimitivesIj14FuncSumPostDivIjE12FanSymmetricILi1EELi0E11ProtoSimpleILi2ELi2ELi0ELi1ELi0ELi0EELi0ELb0ELi0ELi0ELi0EEC2EiiPKiS8_PKvPvmhhhP15ncclDevWorkCollP14ncclDevWorkP2pii
__PRETTY_FUNCTION__._ZN10PrimitivesIj14FuncSumPostDivIjE12FanSymmetricILi1EELi0E11ProtoSimpleILi2ELi2ELi0ELi1ELi0ELi0EELi0ELb0ELi0ELi0ELi0EEC2EiiPKiS8_PKvPvmhhhP15ncclDevWorkCollP14ncclDevWorkP2pii:
	.asciz	"Primitives<unsigned int, FuncSumPostDiv<unsigned int>, FanSymmetric<1>, 0, ProtoSimple<2, 2, 0, 1>, 0>::Primitives(int, int, const int *, const int *, const void *, void *, uint64_t, uint8_t, uint8_t, uint8_t, struct ncclDevWorkColl *, struct ncclDevWorkP2p *, int, int) [T = unsigned int, RedOp = FuncSumPostDiv<unsigned int>, Fan = FanSymmetric<1>, Direct = 0, Proto = ProtoSimple<2, 2, 0, 1>, P2p = 0, isNetOffload = false, Metadata = 0, Pipeline = 0, useAcc = 0]"
	.size	__PRETTY_FUNCTION__._ZN10PrimitivesIj14FuncSumPostDivIjE12FanSymmetricILi1EELi0E11ProtoSimpleILi2ELi2ELi0ELi1ELi0ELi0EELi0ELb0ELi0ELi0ELi0EEC2EiiPKiS8_PKvPvmhhhP15ncclDevWorkCollP14ncclDevWorkP2pii, 467

	.type	__PRETTY_FUNCTION__._ZN10PrimitivesIj14FuncSumPostDivIjE12FanSymmetricILi1EELi0E11ProtoSimpleILi2ELi2ELi0ELi2ELi0ELi0EELi0ELb0ELi0ELi0ELi0EEC2EiiPKiS8_PKvPvmhhhP15ncclDevWorkCollP14ncclDevWorkP2pii,@object ; @__PRETTY_FUNCTION__._ZN10PrimitivesIj14FuncSumPostDivIjE12FanSymmetricILi1EELi0E11ProtoSimpleILi2ELi2ELi0ELi2ELi0ELi0EELi0ELb0ELi0ELi0ELi0EEC2EiiPKiS8_PKvPvmhhhP15ncclDevWorkCollP14ncclDevWorkP2pii
__PRETTY_FUNCTION__._ZN10PrimitivesIj14FuncSumPostDivIjE12FanSymmetricILi1EELi0E11ProtoSimpleILi2ELi2ELi0ELi2ELi0ELi0EELi0ELb0ELi0ELi0ELi0EEC2EiiPKiS8_PKvPvmhhhP15ncclDevWorkCollP14ncclDevWorkP2pii:
	.asciz	"Primitives<unsigned int, FuncSumPostDiv<unsigned int>, FanSymmetric<1>, 0, ProtoSimple<2, 2, 0, 2>, 0>::Primitives(int, int, const int *, const int *, const void *, void *, uint64_t, uint8_t, uint8_t, uint8_t, struct ncclDevWorkColl *, struct ncclDevWorkP2p *, int, int) [T = unsigned int, RedOp = FuncSumPostDiv<unsigned int>, Fan = FanSymmetric<1>, Direct = 0, Proto = ProtoSimple<2, 2, 0, 2>, P2p = 0, isNetOffload = false, Metadata = 0, Pipeline = 0, useAcc = 0]"
	.size	__PRETTY_FUNCTION__._ZN10PrimitivesIj14FuncSumPostDivIjE12FanSymmetricILi1EELi0E11ProtoSimpleILi2ELi2ELi0ELi2ELi0ELi0EELi0ELb0ELi0ELi0ELi0EEC2EiiPKiS8_PKvPvmhhhP15ncclDevWorkCollP14ncclDevWorkP2pii, 467

	.type	__PRETTY_FUNCTION__._ZN10PrimitivesIj14FuncSumPostDivIjE12FanSymmetricILi1EELi0E11ProtoSimpleILi2ELi2ELi0ELi4ELi0ELi0EELi0ELb0ELi0ELi0ELi0EEC2EiiPKiS8_PKvPvmhhhP15ncclDevWorkCollP14ncclDevWorkP2pii,@object ; @__PRETTY_FUNCTION__._ZN10PrimitivesIj14FuncSumPostDivIjE12FanSymmetricILi1EELi0E11ProtoSimpleILi2ELi2ELi0ELi4ELi0ELi0EELi0ELb0ELi0ELi0ELi0EEC2EiiPKiS8_PKvPvmhhhP15ncclDevWorkCollP14ncclDevWorkP2pii
__PRETTY_FUNCTION__._ZN10PrimitivesIj14FuncSumPostDivIjE12FanSymmetricILi1EELi0E11ProtoSimpleILi2ELi2ELi0ELi4ELi0ELi0EELi0ELb0ELi0ELi0ELi0EEC2EiiPKiS8_PKvPvmhhhP15ncclDevWorkCollP14ncclDevWorkP2pii:
	.asciz	"Primitives<unsigned int, FuncSumPostDiv<unsigned int>, FanSymmetric<1>, 0, ProtoSimple<2, 2, 0, 4>, 0>::Primitives(int, int, const int *, const int *, const void *, void *, uint64_t, uint8_t, uint8_t, uint8_t, struct ncclDevWorkColl *, struct ncclDevWorkP2p *, int, int) [T = unsigned int, RedOp = FuncSumPostDiv<unsigned int>, Fan = FanSymmetric<1>, Direct = 0, Proto = ProtoSimple<2, 2, 0, 4>, P2p = 0, isNetOffload = false, Metadata = 0, Pipeline = 0, useAcc = 0]"
	.size	__PRETTY_FUNCTION__._ZN10PrimitivesIj14FuncSumPostDivIjE12FanSymmetricILi1EELi0E11ProtoSimpleILi2ELi2ELi0ELi4ELi0ELi0EELi0ELb0ELi0ELi0ELi0EEC2EiiPKiS8_PKvPvmhhhP15ncclDevWorkCollP14ncclDevWorkP2pii, 467

	.type	__hip_cuid_ded0fbc3b3ae6f3a,@object ; @__hip_cuid_ded0fbc3b3ae6f3a
	.section	.bss,"aw",@nobits
	.globl	__hip_cuid_ded0fbc3b3ae6f3a
__hip_cuid_ded0fbc3b3ae6f3a:
	.byte	0                               ; 0x0
	.size	__hip_cuid_ded0fbc3b3ae6f3a, 1

	.ident	"AMD clang version 19.0.0git (https://github.com/RadeonOpenCompute/llvm-project roc-6.4.0 25133 c7fe45cf4b819c5991fe208aaa96edf142730f1d)"
	.section	".note.GNU-stack","",@progbits
	.addrsig
	.addrsig_sym _Z54ncclDevFunc_AllReduce_RING_SIMPLE_SumPostDiv_u32_0_0_1v
	.addrsig_sym _Z54ncclDevFunc_AllReduce_RING_SIMPLE_SumPostDiv_u32_0_0_2v
	.addrsig_sym _Z54ncclDevFunc_AllReduce_RING_SIMPLE_SumPostDiv_u32_0_0_4v
	.addrsig_sym ncclShmem
	.addrsig_sym __hip_cuid_ded0fbc3b3ae6f3a
	.amdgpu_metadata
---
amdhsa.kernels:  []
amdhsa.target:   amdgcn-amd-amdhsa--gfx90a
amdhsa.version:
  - 1
  - 2
...

	.end_amdgpu_metadata
